;; amdgpu-corpus repo=ROCm/aiter kind=harvested arch=n/a opt=n/a

/root/src/amdgpu-assembly/repos/ROCm__aiter/hsa/gfx950/mla/mla_a8w8_qh32_qseqlen4_gqaratio32_lse_ps.co:	file format elf64-amdgpu

Disassembly of section .text:

0000000000002400 <_ZN5aiter40mla_a8w8_qh32_qseqlen4_gqaratio32_lse_psE>:
	s_and_b32 s1, s1, 0xffff                                   // 000000002400: 8601FF01 0000FFFF
	s_load_dwordx2 s[28:29], s[0:1], 0xe0                      // 000000002408: C0060700 000000E0
	v_lshrrev_b32_e32 v1, 10, v0                               // 000000002410: 2002008A
	v_lshrrev_b32_e32 v2, 10, v1                               // 000000002414: 2004028A
	v_and_b32_e32 v2, 0x3ff, v2                                // 000000002418: 260404FF 000003FF
	v_and_b32_e32 v1, 0x3ff, v1                                // 000000002420: 260202FF 000003FF
	v_and_b32_e32 v0, 0x3ff, v0                                // 000000002428: 260000FF 000003FF
	v_lshrrev_b32_e32 v3, 6, v0                                // 000000002430: 20060086
	v_and_b32_e32 v0, 63, v0                                   // 000000002434: 260000BF
	s_mov_b32 s2, s2                                           // 000000002438: BE820002
	s_mov_b32 s3, s3                                           // 00000000243C: BE830003
	s_mov_b32 s4, s4                                           // 000000002440: BE840004
	v_readfirstlane_b32 s7, v3                                 // 000000002444: 7E0E0503
	s_waitcnt lgkmcnt(0)                                       // 000000002448: BF8CC07F
	s_and_b32 s29, s29, 0xffff                                 // 00000000244C: 861DFF1D 0000FFFF
	s_load_dwordx2 s[32:33], s[28:29], 0x0                     // 000000002454: C006080E 00000000
	s_load_dwordx2 s[30:31], s[28:29], 0x8                     // 00000000245C: C006078E 00000008
	s_waitcnt lgkmcnt(0)                                       // 000000002464: BF8CC07F
	s_mul_i32 s56, s2, 4                                       // 000000002468: 92388402
	s_and_b32 s33, s33, 0xffff                                 // 00000000246C: 8621FF21 0000FFFF
	s_add_u32 s32, s56, s32                                    // 000000002474: 80202038
	s_addc_u32 s33, 0, s33                                     // 000000002478: 82212180
	s_load_dword s85, s[32:33], 0x0                            // 00000000247C: C0021550 00000000
	s_load_dword s86, s[32:33], 0x4                            // 000000002484: C0021590 00000004
	s_and_b32 s31, s31, 0xffff                                 // 00000000248C: 861FFF1F 0000FFFF
	s_waitcnt lgkmcnt(0)                                       // 000000002494: BF8CC07F
	s_cmp_eq_i32 s85, s86                                      // 000000002498: BF005655
	s_cbranch_scc1 label_10B10                                 // 00000000249C: BF85421A
	s_mul_i32 s56, s85, 32                                     // 0000000024A0: 9238A055

00000000000024a4 <label_00A4>:
	s_waitcnt vmcnt(0) expcnt(0) lgkmcnt(0)                    // 0000000024A4: BF8C0000
	s_barrier                                                  // 0000000024A8: BF8A0000
	s_add_u32 s30, s56, s30                                    // 0000000024AC: 801E1E38
	s_addc_u32 s31, 0, s31                                     // 0000000024B0: 821F1F80
	s_load_dword s66, s[30:31], 0x0                            // 0000000024B4: C002108F 00000000
	s_load_dword s87, s[30:31], 0x4                            // 0000000024BC: C00215CF 00000004
	s_load_dword s78, s[30:31], 0x8                            // 0000000024C4: C002138F 00000008
	s_load_dword s79, s[30:31], 0xc                            // 0000000024CC: C00213CF 0000000C
	s_load_dword s47, s[30:31], 0x10                           // 0000000024D4: C0020BCF 00000010
	s_load_dword s46, s[30:31], 0x14                           // 0000000024DC: C0020B8F 00000014
	s_load_dword s77, s[30:31], 0x18                           // 0000000024E4: C002134F 00000018
	s_load_dwordx2 s[8:9], s[0:1], 0x0                         // 0000000024EC: C0060200 00000000
	s_load_dwordx2 s[12:13], s[0:1], 0x10                      // 0000000024F4: C0060300 00000010
	s_load_dwordx2 s[16:17], s[0:1], 0x20                      // 0000000024FC: C0060400 00000020
	s_load_dwordx2 s[20:21], s[0:1], 0x30                      // 000000002504: C0060500 00000030
	s_load_dwordx2 s[24:25], s[0:1], 0x50                      // 00000000250C: C0060600 00000050
	s_load_dword s64, s[0:1], 0x70                             // 000000002514: C0021000 00000070
	s_load_dword s90, s[0:1], 0x80                             // 00000000251C: C0021680 00000080
	s_load_dword s67, s[0:1], 0x90                             // 000000002524: C00210C0 00000090
	s_load_dword s68, s[0:1], 0xb0                             // 00000000252C: C0021100 000000B0
	s_load_dword s69, s[0:1], 0xc0                             // 000000002534: C0021140 000000C0
	s_load_dwordx2 s[32:33], s[0:1], 0xd0                      // 00000000253C: C0060800 000000D0
	s_load_dwordx2 s[88:89], s[0:1], 0xf0                      // 000000002544: C0061600 000000F0
	s_load_dwordx2 s[92:93], s[0:1], 0x130                     // 00000000254C: C0061700 00000130
	s_load_dwordx2 s[40:41], s[0:1], 0x100                     // 000000002554: C0060A00 00000100
	s_load_dwordx2 s[42:43], s[0:1], 0x110                     // 00000000255C: C0060A80 00000110
	s_waitcnt lgkmcnt(0)                                       // 000000002564: BF8CC07F
	s_mul_i32 s56, s66, 4                                      // 000000002568: 92388442
	s_add_u32 s32, s56, s32                                    // 00000000256C: 80202038
	s_addc_u32 s33, 0, s33                                     // 000000002570: 82212180
	s_load_dword s66, s[32:33], 0x4                            // 000000002574: C0021090 00000004
	s_sub_u32 s81, s79, s78                                    // 00000000257C: 80D14E4F
	s_mul_i32 s65, s90, s81                                    // 000000002580: 9241515A
	s_min_u32 s76, 32, s65                                     // 000000002584: 83CC41A0
	s_mul_i32 s74, 0x240, s65                                  // 000000002588: 924A41FF 00000240
	s_mul_i32 s56, 4, s65                                      // 000000002590: 92384184
	s_mov_b32 s10, s75                                         // 000000002594: BE8A004B
	s_mov_b32 s18, s74                                         // 000000002598: BE92004A
	s_mov_b32 s14, s56                                         // 00000000259C: BE8E0038
	s_mov_b32 s94, s56                                         // 0000000025A0: BEDE0038
	s_mov_b32 s22, -16                                         // 0000000025A4: BE9600D0
	s_mov_b32 s26, -16                                         // 0000000025A8: BE9A00D0
	s_mov_b32 s11, 0x20000                                     // 0000000025AC: BE8B00FF 00020000
	s_mov_b32 s91, 0x20000                                     // 0000000025B4: BEDB00FF 00020000
	s_mov_b32 s19, 0x20000                                     // 0000000025BC: BE9300FF 00020000
	s_mov_b32 s15, 0x20000                                     // 0000000025C4: BE8F00FF 00020000
	s_mov_b32 s95, 0x20000                                     // 0000000025CC: BEDF00FF 00020000
	s_mov_b32 s23, 0x20000                                     // 0000000025D4: BE9700FF 00020000
	s_mov_b32 s27, 0x20000                                     // 0000000025DC: BE9B00FF 00020000
	s_and_b32 s9, s9, 0xffff                                   // 0000000025E4: 8609FF09 0000FFFF
	s_and_b32 s89, s89, 0xffff                                 // 0000000025EC: 8659FF59 0000FFFF
	s_and_b32 s17, s17, 0xffff                                 // 0000000025F4: 8611FF11 0000FFFF
	s_and_b32 s13, s13, 0xffff                                 // 0000000025FC: 860DFF0D 0000FFFF
	s_and_b32 s93, s93, 0xffff                                 // 000000002604: 865DFF5D 0000FFFF
	s_and_b32 s21, s21, 0xffff                                 // 00000000260C: 8615FF15 0000FFFF
	s_and_b32 s25, s25, 0xffff                                 // 000000002614: 8619FF19 0000FFFF
	s_and_b32 s41, s41, 0xffff                                 // 00000000261C: 8629FF29 0000FFFF
	s_and_b32 s43, s43, 0xffff                                 // 000000002624: 862BFF2B 0000FFFF
	s_or_b32 s9, s9, 0x40000                                   // 00000000262C: 8709FF09 00040000
	s_or_b32 s89, s89, 0x40000                                 // 000000002634: 8759FF59 00040000
	s_or_b32 s17, s17, 0x40000                                 // 00000000263C: 8711FF11 00040000
	s_or_b32 s13, s13, 0x40000                                 // 000000002644: 870DFF0D 00040000
	s_or_b32 s93, s93, 0x40000                                 // 00000000264C: 875DFF5D 00040000
	s_or_b32 s21, s21, 0x40000                                 // 000000002654: 8715FF15 00040000
	s_or_b32 s25, s25, 0x40000                                 // 00000000265C: 8719FF19 00040000
	s_mov_b32 s67, 1                                           // 000000002664: BEC30081
	s_mov_b32 s80, 0                                           // 000000002668: BED00080
	s_waitcnt lgkmcnt(0)                                       // 00000000266C: BF8CC07F
	s_load_dword s60, s[40:41], 0x0                            // 000000002670: C0020F14 00000000
	s_load_dword s61, s[42:43], 0x0                            // 000000002678: C0020F55 00000000
	s_mov_b32 s69, 0                                           // 000000002680: BEC50080
	s_lshr_b32 s44, 64, s69                                    // 000000002684: 8F2C45C0
	s_mul_i32 s73, s44, 4                                      // 000000002688: 9249842C
	s_mul_i32 s73, s73, s67                                    // 00000000268C: 92494349
	s_mul_i32 s45, s4, s44                                     // 000000002690: 922D2C04
	s_sub_u32 s50, s46, s47                                    // 000000002694: 80B22F2E
	s_sub_i32 s82, s50, s66                                    // 000000002698: 81D24232
	s_add_u32 s82, s78, s82                                    // 00000000269C: 8052524E
	s_add_u32 s82, s77, s82                                    // 0000000026A0: 8052524D
	s_mov_b32 s83, 63                                          // 0000000026A4: BED300BF
	s_add_u32 s83, s83, s45                                    // 0000000026A8: 80532D53
	s_mul_i32 s84, s67, 64                                     // 0000000026AC: 9254C043
	s_cmp_le_u32 s50, s45                                      // 0000000026B0: BF0B2D32
	s_cbranch_scc1 label_10B10                                 // 0000000026B4: BF854194
	s_mul_i32 s56, s50, 4                                      // 0000000026B8: 92388432
	s_mov_b32 s26, s56                                         // 0000000026BC: BE9A0038
	s_mul_i32 s56, s47, 4                                      // 0000000026C0: 9238842F
	s_add_u32 s24, s56, s24                                    // 0000000026C4: 80181838
	s_addc_u32 s25, 0, s25                                     // 0000000026C8: 82191980
	s_mov_b32 s70, 0                                           // 0000000026CC: BEC60080
	s_sub_u32 s71, s50, s45                                    // 0000000026D0: 80C72D32
	s_mul_i32 s37, s67, s44                                    // 0000000026D4: 92252C43
	s_mov_b32 s36, s71                                         // 0000000026D8: BEA40047
	v_cvt_f32_u32_e32 v28, s37                                 // 0000000026DC: 7E380C25
	s_sub_i32 s56, 0, s37                                      // 0000000026E0: 81B82580
	v_rcp_iflag_f32_e32 v28, v28                               // 0000000026E4: 7E38471C
	s_nop 0                                                    // 0000000026E8: BF800000
	v_mul_f32_e32 v28, 0x4f7ffffe, v28                         // 0000000026EC: 0A3838FF 4F7FFFFE
	v_cvt_u32_f32_e32 v28, v28                                 // 0000000026F4: 7E380F1C
	v_mul_lo_u32 v29, s56, v28                                 // 0000000026F8: D285001D 00023838
	v_mul_hi_u32 v29, v28, v29                                 // 000000002700: D286001D 00023B1C
	v_add_u32_e32 v28, v28, v29                                // 000000002708: 68383B1C
	v_mul_hi_u32 v28, s36, v28                                 // 00000000270C: D286001C 00023824
	v_mul_lo_u32 v29, v28, s37                                 // 000000002714: D285001D 00004B1C
	v_sub_u32_e32 v31, s36, v29                                // 00000000271C: 6A3E3A24
	v_add_u32_e32 v30, 1, v28                                  // 000000002720: 683C3881
	v_cmp_le_u32_e32 vcc, s37, v31                             // 000000002724: 7D963E25
	v_subrev_u32_e32 v29, s37, v31                             // 000000002728: 6C3A3E25
	s_nop 0                                                    // 00000000272C: BF800000
	v_cndmask_b32_e32 v28, v28, v30, vcc                       // 000000002730: 00383D1C
	v_cndmask_b32_e32 v31, v31, v29, vcc                       // 000000002734: 003E3B1F
	v_add_u32_e32 v29, 1, v28                                  // 000000002738: 683A3881
	v_cmp_le_u32_e32 vcc, s37, v31                             // 00000000273C: 7D963E25
	s_nop 1                                                    // 000000002740: BF800001
	v_cndmask_b32_e32 v31, v28, v29, vcc                       // 000000002744: 003E3B1C
	s_nop 3                                                    // 000000002748: BF800003
	v_readfirstlane_b32 s38, v31                               // 00000000274C: 7E4C051F
	s_nop 3                                                    // 000000002750: BF800003
	s_mov_b32 s71, s38                                         // 000000002754: BEC70026
	s_mul_i32 s56, s71, s37                                    // 000000002758: 92382547
	s_sub_u32 s56, s36, s56                                    // 00000000275C: 80B83824
	s_mov_b32 s57, 0                                           // 000000002760: BEB90080
	s_cmp_lt_u32 s56, s44                                      // 000000002764: BF0A2C38
	s_cselect_b32 s57, s57, 1                                  // 000000002768: 85398139
	s_add_u32 s71, s57, s71                                    // 00000000276C: 80474739
	s_cmpk_eq_u32 s57, 0x1                                     // 000000002770: B4390001
	s_cselect_b32 s49, 0, s56                                  // 000000002774: 85313880
	s_mov_b32 s48, s49                                         // 000000002778: BEB00031
	v_lshrrev_b32_e32 v28, 2, v0                               // 00000000277C: 20380082
	s_mul_i32 s56, s7, 16                                      // 000000002780: 92389007
	v_add_u32_e64 v27, v28, s56                                // 000000002784: D134001B 0000711C
	v_add_u32_e32 v27, s45, v27                                // 00000000278C: 6836362D
	v_lshlrev_b32_e32 v27, 2, v27                              // 000000002790: 24363682
	buffer_load_dword v24, v27, s[24:27], 0 offen              // 000000002794: E0501000 8006181B
	v_add_u32_e32 v27, s73, v27                                // 00000000279C: 68363649
	buffer_load_dword v25, v27, s[24:27], 0 offen              // 0000000027A0: E0501000 8006191B
	v_add_u32_e32 v27, s73, v27                                // 0000000027A8: 68363649
	s_mul_i32 s56, 0x240, s90                                  // 0000000027AC: 92385AFF 00000240
	s_mul_i32 s57, s78, s56                                    // 0000000027B4: 9239384E
	s_add_u32 s16, s57, s16                                    // 0000000027B8: 80101039
	s_addc_u32 s17, 0, s17                                     // 0000000027BC: 82111180
	s_mul_i32 s57, s56, s81                                    // 0000000027C0: 92395138
	s_mov_b32 s18, s57                                         // 0000000027C4: BE920039
	s_mul_i32 s56, s7, 0x400                                   // 0000000027C8: 9238FF07 00000400
	s_add_u32 m0, 0x2000, s56                                  // 0000000027D0: 807C38FF 00002000
	v_and_b32_e32 v28, 3, v0                                   // 0000000027D8: 26380083
	v_mov_b32_e32 v29, 0                                       // 0000000027DC: 7E3A0280
	s_mov_b32 s56, 0                                           // 0000000027E0: BEB80080
	s_mov_b32 s57, -1                                          // 0000000027E4: BEB900C1
	v_cndmask_b32_e64 v30, v29, v28, s[56:57]                  // 0000000027E8: D100001E 00E2391D
	s_nop 2                                                    // 0000000027F0: BF800002
	v_mov_b32_dpp v30, v30 quad_perm:[2,3,0,1] row_mask:0xf bank_mask:0xf// 0000000027F4: 7E3C02FA FF004E1E
	v_cndmask_b32_e64 v31, v28, v30, s[56:57]                  // 0000000027FC: D100001F 00E23D1C
	v_lshlrev_b32_e32 v31, 4, v31                              // 000000002804: 243E3E84
	v_mov_b32_e32 v1, v31                                      // 000000002808: 7E02031F
	v_lshrrev_b32_e32 v28, 2, v0                               // 00000000280C: 20380082
	s_mov_b32 s56, 0x240                                       // 000000002810: BEB800FF 00000240
	v_mul_i32_i24_e64 v28, v28, s56                            // 000000002818: D106001C 0000711C
	s_mul_i32 s56, s7, 64                                      // 000000002820: 9238C007
	v_add_u32_e32 v29, v28, v31                                // 000000002824: 683A3F1C
	v_add_u32_e64 v29, v29, s56                                // 000000002828: D134001D 0000711D
	buffer_load_dwordx4 v29, s[16:19], 0 offen lds             // 000000002830: E05D1000 8004001D
	s_add_u32 m0, m0, 0x1000                                   // 000000002838: 807CFF7C 00001000
	v_add_u32_e32 v29, 0x100, v29                              // 000000002840: 683A3AFF 00000100
	buffer_load_dwordx4 v29, s[16:19], 0 offen lds             // 000000002848: E05D1000 8004001D
	s_add_u32 m0, m0, 0x1000                                   // 000000002850: 807CFF7C 00001000
	v_add_u32_e32 v29, 0x100, v29                              // 000000002858: 683A3AFF 00000100
	;; [unrolled: 3-line block ×3, first 2 shown]
	v_add_u32_e32 v29, 0x2100, v29                             // 000000002878: 683A3AFF 00002100
	buffer_load_dwordx4 v29, s[16:19], 0 offen lds             // 000000002880: E05D1000 8004001D
	s_add_u32 m0, m0, 0x1000                                   // 000000002888: 807CFF7C 00001000
	v_add_u32_e32 v29, 0x100, v29                              // 000000002890: 683A3AFF 00000100
	buffer_load_dwordx4 v29, s[16:19], 0 offen lds             // 000000002898: E05D1000 8004001D
	s_add_u32 m0, m0, 0x1000                                   // 0000000028A0: 807CFF7C 00001000
	v_add_u32_e32 v29, 0x100, v29                              // 0000000028A8: 683A3AFF 00000100
	buffer_load_dwordx4 v29, s[16:19], 0 offen lds             // 0000000028B0: E05D1000 8004001D
	s_add_u32 m0, m0, 0x1000                                   // 0000000028B8: 807CFF7C 00001000
	v_add_u32_e32 v29, 0x100, v29                              // 0000000028C0: 683A3AFF 00000100
	v_add_u32_e32 v29, 0x2100, v29                             // 0000000028C8: 683A3AFF 00002100
	buffer_load_dwordx4 v29, s[16:19], 0 offen lds             // 0000000028D0: E05D1000 8004001D
	s_add_u32 m0, m0, 0x1000                                   // 0000000028D8: 807CFF7C 00001000
	v_add_u32_e32 v29, 0x100, v29                              // 0000000028E0: 683A3AFF 00000100
	buffer_load_dwordx4 v29, s[16:19], 0 offen lds             // 0000000028E8: E05D1000 8004001D
	s_add_u32 m0, m0, 0x1000                                   // 0000000028F0: 807CFF7C 00001000
	v_add_u32_e32 v29, 0x100, v29                              // 0000000028F8: 683A3AFF 00000100
	buffer_load_dwordx4 v29, s[16:19], 0 offen lds             // 000000002900: E05D1000 8004001D
	s_add_u32 m0, m0, 0x1000                                   // 000000002908: 807CFF7C 00001000
	v_add_u32_e32 v29, 0x100, v29                              // 000000002910: 683A3AFF 00000100
	v_add_u32_e32 v29, 0x2100, v29                             // 000000002918: 683A3AFF 00002100
	buffer_load_dwordx4 v29, s[16:19], 0 offen lds             // 000000002920: E05D1000 8004001D
	s_add_u32 m0, m0, 0x1000                                   // 000000002928: 807CFF7C 00001000
	v_add_u32_e32 v29, 0x100, v29                              // 000000002930: 683A3AFF 00000100
	buffer_load_dwordx4 v29, s[16:19], 0 offen lds             // 000000002938: E05D1000 8004001D
	s_add_u32 m0, m0, 0x1000                                   // 000000002940: 807CFF7C 00001000
	v_add_u32_e32 v29, 0x100, v29                              // 000000002948: 683A3AFF 00000100
	;; [unrolled: 3-line block ×3, first 2 shown]
	v_add_u32_e32 v29, 0x2100, v29                             // 000000002968: 683A3AFF 00002100
	buffer_load_dwordx4 v29, s[16:19], 0 offen lds             // 000000002970: E05D1000 8004001D
	s_add_u32 m0, m0, 0x1000                                   // 000000002978: 807CFF7C 00001000
	v_add_u32_e32 v29, 0x100, v29                              // 000000002980: 683A3AFF 00000100
	buffer_load_dwordx4 v29, s[16:19], 0 offen lds             // 000000002988: E05D1000 8004001D
	s_add_u32 m0, m0, 0x1000                                   // 000000002990: 807CFF7C 00001000
	v_add_u32_e32 v29, 0x100, v29                              // 000000002998: 683A3AFF 00000100
	buffer_load_dwordx4 v29, s[16:19], 0 offen lds             // 0000000029A0: E05D1000 8004001D
	s_add_u32 m0, m0, 0x1000                                   // 0000000029A8: 807CFF7C 00001000
	v_add_u32_e32 v29, 0x100, v29                              // 0000000029B0: 683A3AFF 00000100
	v_add_u32_e32 v29, 0x2100, v29                             // 0000000029B8: 683A3AFF 00002100
	buffer_load_dwordx4 v29, s[16:19], 0 offen lds             // 0000000029C0: E05D1000 8004001D
	s_add_u32 m0, m0, 0x1000                                   // 0000000029C8: 807CFF7C 00001000
	v_add_u32_e32 v29, 0x100, v29                              // 0000000029D0: 683A3AFF 00000100
	buffer_load_dwordx4 v29, s[16:19], 0 offen lds             // 0000000029D8: E05D1000 8004001D
	s_add_u32 m0, m0, 0x1000                                   // 0000000029E0: 807CFF7C 00001000
	v_add_u32_e32 v29, 0x100, v29                              // 0000000029E8: 683A3AFF 00000100
	buffer_load_dwordx4 v29, s[16:19], 0 offen lds             // 0000000029F0: E05D1000 8004001D
	s_add_u32 m0, m0, 0x1000                                   // 0000000029F8: 807CFF7C 00001000
	v_add_u32_e32 v29, 0x100, v29                              // 000000002A00: 683A3AFF 00000100
	v_add_u32_e32 v29, 0x2100, v29                             // 000000002A08: 683A3AFF 00002100
	buffer_load_dwordx4 v29, s[16:19], 0 offen lds             // 000000002A10: E05D1000 8004001D
	s_add_u32 m0, m0, 0x1000                                   // 000000002A18: 807CFF7C 00001000
	v_add_u32_e32 v29, 0x100, v29                              // 000000002A20: 683A3AFF 00000100
	buffer_load_dwordx4 v29, s[16:19], 0 offen lds             // 000000002A28: E05D1000 8004001D
	s_add_u32 m0, m0, 0x1000                                   // 000000002A30: 807CFF7C 00001000
	v_add_u32_e32 v29, 0x100, v29                              // 000000002A38: 683A3AFF 00000100
	buffer_load_dwordx4 v29, s[16:19], 0 offen lds             // 000000002A40: E05D1000 8004001D
	s_add_u32 m0, m0, 0x1000                                   // 000000002A48: 807CFF7C 00001000
	v_add_u32_e32 v29, 0x100, v29                              // 000000002A50: 683A3AFF 00000100
	v_add_u32_e32 v29, 0x2100, v29                             // 000000002A58: 683A3AFF 00002100
	buffer_load_dwordx4 v29, s[16:19], 0 offen lds             // 000000002A60: E05D1000 8004001D
	s_add_u32 m0, m0, 0x1000                                   // 000000002A68: 807CFF7C 00001000
	v_add_u32_e32 v29, 0x100, v29                              // 000000002A70: 683A3AFF 00000100
	buffer_load_dwordx4 v29, s[16:19], 0 offen lds             // 000000002A78: E05D1000 8004001D
	s_add_u32 m0, m0, 0x1000                                   // 000000002A80: 807CFF7C 00001000
	v_add_u32_e32 v29, 0x100, v29                              // 000000002A88: 683A3AFF 00000100
	buffer_load_dwordx4 v29, s[16:19], 0 offen lds             // 000000002A90: E05D1000 8004001D
	s_add_u32 m0, m0, 0x1000                                   // 000000002A98: 807CFF7C 00001000
	v_add_u32_e32 v29, 0x100, v29                              // 000000002AA0: 683A3AFF 00000100
	v_add_u32_e32 v29, 0x2100, v29                             // 000000002AA8: 683A3AFF 00002100
	s_mov_b32 s52, 0x7060302                                   // 000000002AB0: BEB400FF 07060302
	s_mov_b32 s53, 0x5040100                                   // 000000002AB8: BEB500FF 05040100
	s_mul_i32 s51, s7, 4                                       // 000000002AC0: 92338407
	s_mov_b32 s6, 0x3fb8aa3b                                   // 000000002AC4: BE8600FF 3FB8AA3B
	v_mov_b32_e32 v29, s6                                      // 000000002ACC: 7E3A0206
	v_mov_b32_e32 v28, s64                                     // 000000002AD0: 7E380240
	v_mul_f32_e32 v28, s6, v28                                 // 000000002AD4: 0A383806
	v_rcp_f32_e32 v29, v29                                     // 000000002AD8: 7E3A451D
	v_mov_b32_e32 v2, 0xff800000                               // 000000002ADC: 7E0402FF FF800000
	v_mov_b32_e32 v17, 0                                       // 000000002AE4: 7E220280
	v_mov_b32_e32 v4, 0                                        // 000000002AE8: 7E080280
	v_readfirstlane_b32 s5, v28                                // 000000002AEC: 7E0A051C
	v_readfirstlane_b32 s63, v29                               // 000000002AF0: 7E7E051D
	s_waitcnt lgkmcnt(0)                                       // 000000002AF4: BF8CC07F
	v_mov_b32_e32 v28, s60                                     // 000000002AF8: 7E38023C
	v_mul_f32_e32 v28, s61, v28                                // 000000002AFC: 0A38383D
	v_mul_f32_e32 v29, s5, v28                                 // 000000002B00: 0A3A3805
	v_mul_f32_e32 v31, s64, v28                                // 000000002B04: 0A3E3840
	v_readfirstlane_b32 s5, v29                                // 000000002B08: 7E0A051D
	v_readfirstlane_b32 s64, v31                               // 000000002B0C: 7E80051F
	v_and_b32_e32 v28, 15, v0                                  // 000000002B10: 2638008F
	v_lshlrev_b32_e32 v28, 4, v28                              // 000000002B14: 24383884
	v_and_b32_e32 v29, 31, v0                                  // 000000002B18: 263A009F
	v_lshrrev_b32_e32 v29, 4, v29                              // 000000002B1C: 203A3A84
	s_mov_b32 s56, 0xc00                                       // 000000002B20: BEB800FF 00000C00
	v_mul_i32_i24_e32 v29, s56, v29                            // 000000002B28: 0C3A3A38
	v_add_u32_e32 v9, v28, v29                                 // 000000002B2C: 68123B1C
	v_mov_b32_e32 v10, v9                                      // 000000002B30: 7E140309
	v_and_b32_e32 v28, 15, v0                                  // 000000002B34: 2638008F
	v_lshrrev_b32_e32 v28, 3, v28                              // 000000002B38: 20383883
	v_lshlrev_b32_e32 v28, 3, v28                              // 000000002B3C: 24383883
	v_lshrrev_b32_e32 v29, 5, v0                               // 000000002B40: 203A0085
	v_lshlrev_b32_e32 v29, 2, v29                              // 000000002B44: 243A3A82
	v_add_u32_e32 v9, v9, v28                                  // 000000002B48: 68123909
	v_add_u32_e32 v9, v9, v29                                  // 000000002B4C: 68123B09
	v_and_b32_e32 v28, 15, v0                                  // 000000002B50: 2638008F
	v_lshrrev_b32_e32 v28, 3, v28                              // 000000002B54: 20383883
	s_mov_b32 s56, 1                                           // 000000002B58: BEB80081
	v_mov_b32_e32 v29, s56                                     // 000000002B5C: 7E3A0238
	v_xor_b32_e32 v28, v29, v28                                // 000000002B60: 2A38391D
	v_lshlrev_b32_e32 v28, 3, v28                              // 000000002B64: 24383883
	v_lshrrev_b32_e32 v29, 5, v0                               // 000000002B68: 203A0085
	v_lshlrev_b32_e32 v29, 2, v29                              // 000000002B6C: 243A3A82
	v_add_u32_e32 v10, v10, v28                                // 000000002B70: 6814390A
	v_add_u32_e32 v10, v10, v29                                // 000000002B74: 68143B0A
	s_mov_b32 s56, 0                                           // 000000002B78: BEB80080
	v_lshlrev_b32_e32 v9, 2, v9                                // 000000002B7C: 24121282
	v_lshlrev_b32_e32 v10, 2, v10                              // 000000002B80: 24141482
	s_mul_i32 s56, s7, 0x6000                                  // 000000002B84: 9238FF07 00006000
	v_add_u32_e32 v9, s56, v9                                  // 000000002B8C: 68121238
	v_add_u32_e32 v10, s56, v10                                // 000000002B90: 68141438
	s_waitcnt vmcnt(0)                                         // 000000002B94: BF8C0F70
	s_barrier                                                  // 000000002B98: BF8A0000
	ds_read_b128 a[0:3], v9 offset:8192                        // 000000002B9C: DBFE2000 00000009
	ds_read_b128 a[8:11], v9 offset:9216                       // 000000002BA4: DBFE2400 08000009
	ds_read_b128 a[16:19], v9 offset:10240                     // 000000002BAC: DBFE2800 10000009
	ds_read_b128 a[24:27], v9 offset:11264                     // 000000002BB4: DBFE2C00 18000009
	ds_read_b128 a[32:35], v9 offset:12288                     // 000000002BBC: DBFE3000 20000009
	ds_read_b128 a[40:43], v9 offset:13312                     // 000000002BC4: DBFE3400 28000009
	ds_read_b128 a[48:51], v9 offset:14336                     // 000000002BCC: DBFE3800 30000009
	ds_read_b128 a[56:59], v9 offset:15360                     // 000000002BD4: DBFE3C00 38000009
	ds_read_b128 a[64:67], v9 offset:16384                     // 000000002BDC: DBFE4000 40000009
	ds_read_b128 a[4:7], v10 offset:8192                       // 000000002BE4: DBFE2000 0400000A
	ds_read_b128 a[12:15], v10 offset:9216                     // 000000002BEC: DBFE2400 0C00000A
	ds_read_b128 a[20:23], v10 offset:10240                    // 000000002BF4: DBFE2800 1400000A
	ds_read_b128 a[28:31], v10 offset:11264                    // 000000002BFC: DBFE2C00 1C00000A
	ds_read_b128 a[36:39], v10 offset:12288                    // 000000002C04: DBFE3000 2400000A
	ds_read_b128 a[44:47], v10 offset:13312                    // 000000002C0C: DBFE3400 2C00000A
	ds_read_b128 a[52:55], v10 offset:14336                    // 000000002C14: DBFE3800 3400000A
	ds_read_b128 a[60:63], v10 offset:15360                    // 000000002C1C: DBFE3C00 3C00000A
	ds_read_b128 a[68:71], v10 offset:16384                    // 000000002C24: DBFE4000 4400000A
	v_mov_b32_e32 v192, 0                                      // 000000002C2C: 7F800280
	v_mov_b32_e32 v193, 0                                      // 000000002C30: 7F820280
	v_mov_b32_e32 v194, 0                                      // 000000002C34: 7F840280
	v_mov_b32_e32 v195, 0                                      // 000000002C38: 7F860280
	v_mov_b32_e32 v196, 0                                      // 000000002C3C: 7F880280
	v_mov_b32_e32 v197, 0                                      // 000000002C40: 7F8A0280
	v_mov_b32_e32 v198, 0                                      // 000000002C44: 7F8C0280
	v_mov_b32_e32 v199, 0                                      // 000000002C48: 7F8E0280
	v_mov_b32_e32 v200, 0                                      // 000000002C4C: 7F900280
	v_mov_b32_e32 v201, 0                                      // 000000002C50: 7F920280
	v_mov_b32_e32 v202, 0                                      // 000000002C54: 7F940280
	v_mov_b32_e32 v203, 0                                      // 000000002C58: 7F960280
	v_mov_b32_e32 v204, 0                                      // 000000002C5C: 7F980280
	v_mov_b32_e32 v205, 0                                      // 000000002C60: 7F9A0280
	v_mov_b32_e32 v206, 0                                      // 000000002C64: 7F9C0280
	v_mov_b32_e32 v207, 0                                      // 000000002C68: 7F9E0280
	v_mov_b32_e32 v208, 0                                      // 000000002C6C: 7FA00280
	v_mov_b32_e32 v209, 0                                      // 000000002C70: 7FA20280
	v_mov_b32_e32 v210, 0                                      // 000000002C74: 7FA40280
	v_mov_b32_e32 v211, 0                                      // 000000002C78: 7FA60280
	v_mov_b32_e32 v212, 0                                      // 000000002C7C: 7FA80280
	v_mov_b32_e32 v213, 0                                      // 000000002C80: 7FAA0280
	v_mov_b32_e32 v214, 0                                      // 000000002C84: 7FAC0280
	v_mov_b32_e32 v215, 0                                      // 000000002C88: 7FAE0280
	v_mov_b32_e32 v216, 0                                      // 000000002C8C: 7FB00280
	v_mov_b32_e32 v217, 0                                      // 000000002C90: 7FB20280
	v_mov_b32_e32 v218, 0                                      // 000000002C94: 7FB40280
	v_mov_b32_e32 v219, 0                                      // 000000002C98: 7FB60280
	v_mov_b32_e32 v220, 0                                      // 000000002C9C: 7FB80280
	v_mov_b32_e32 v221, 0                                      // 000000002CA0: 7FBA0280
	v_mov_b32_e32 v222, 0                                      // 000000002CA4: 7FBC0280
	v_mov_b32_e32 v223, 0                                      // 000000002CA8: 7FBE0280
	s_waitcnt lgkmcnt(0)                                       // 000000002CAC: BF8CC07F
	v_mul_u32_u24_e64 v31, v24, s68                            // 000000002CB0: D108001F 00008918
	v_add_u32_e32 v31, v31, v1                                 // 000000002CB8: 683E031F
	s_mov_b32 s56, 0x14000                                     // 000000002CBC: BEB800FF 00014000
	s_mul_i32 s57, s7, 0x2400                                  // 000000002CC4: 9239FF07 00002400
	s_add_u32 m0, s56, s57                                     // 000000002CCC: 807C3938
	buffer_load_dwordx4 v31, s[20:23], 0 offen lds             // 000000002CD0: E05D1000 8005001F
	s_add_i32 m0, m0, 0x3c0                                    // 000000002CD8: 817CFF7C 000003C0
	buffer_load_dwordx4 v31, s[20:23], 0 offen offset:64 lds   // 000000002CE0: E05D1040 8005001F
	s_add_i32 m0, m0, 0x3c0                                    // 000000002CE8: 817CFF7C 000003C0
	buffer_load_dwordx4 v31, s[20:23], 0 offen offset:128 lds  // 000000002CF0: E05D1080 8005001F
	s_add_i32 m0, m0, 0x3c0                                    // 000000002CF8: 817CFF7C 000003C0
	buffer_load_dwordx4 v31, s[20:23], 0 offen offset:192 lds  // 000000002D00: E05D10C0 8005001F
	s_add_i32 m0, m0, 0x3c0                                    // 000000002D08: 817CFF7C 000003C0
	buffer_load_dwordx4 v31, s[20:23], 0 offen offset:256 lds  // 000000002D10: E05D1100 8005001F
	s_add_i32 m0, m0, 0x3c0                                    // 000000002D18: 817CFF7C 000003C0
	buffer_load_dwordx4 v31, s[20:23], 0 offen offset:320 lds  // 000000002D20: E05D1140 8005001F
	s_add_i32 m0, m0, 0x3c0                                    // 000000002D28: 817CFF7C 000003C0
	buffer_load_dwordx4 v31, s[20:23], 0 offen offset:384 lds  // 000000002D30: E05D1180 8005001F
	s_add_i32 m0, m0, 0x3c0                                    // 000000002D38: 817CFF7C 000003C0
	buffer_load_dwordx4 v31, s[20:23], 0 offen offset:448 lds  // 000000002D40: E05D11C0 8005001F
	s_add_i32 m0, m0, 0x3c0                                    // 000000002D48: 817CFF7C 000003C0
	buffer_load_dwordx4 v31, s[20:23], 0 offen offset:512 lds  // 000000002D50: E05D1200 8005001F
	s_add_i32 m0, m0, 0x3c0                                    // 000000002D58: 817CFF7C 000003C0
	buffer_load_dword v26, v27, s[24:27], 0 offen              // 000000002D60: E0501000 80061A1B
	v_add_u32_e32 v27, s73, v27                                // 000000002D68: 68363649
	v_mov_b32_e32 v64, 0                                       // 000000002D6C: 7E800280
	v_mov_b32_e32 v65, 0                                       // 000000002D70: 7E820280
	v_mov_b32_e32 v66, 0                                       // 000000002D74: 7E840280
	v_mov_b32_e32 v67, 0                                       // 000000002D78: 7E860280
	v_mov_b32_e32 v68, 0                                       // 000000002D7C: 7E880280
	v_mov_b32_e32 v69, 0                                       // 000000002D80: 7E8A0280
	v_mov_b32_e32 v70, 0                                       // 000000002D84: 7E8C0280
	v_mov_b32_e32 v71, 0                                       // 000000002D88: 7E8E0280
	v_mov_b32_e32 v72, 0                                       // 000000002D8C: 7E900280
	v_mov_b32_e32 v73, 0                                       // 000000002D90: 7E920280
	v_mov_b32_e32 v74, 0                                       // 000000002D94: 7E940280
	v_mov_b32_e32 v75, 0                                       // 000000002D98: 7E960280
	v_mov_b32_e32 v76, 0                                       // 000000002D9C: 7E980280
	v_mov_b32_e32 v77, 0                                       // 000000002DA0: 7E9A0280
	v_mov_b32_e32 v78, 0                                       // 000000002DA4: 7E9C0280
	v_mov_b32_e32 v79, 0                                       // 000000002DA8: 7E9E0280
	v_mov_b32_e32 v80, 0                                       // 000000002DAC: 7EA00280
	v_mov_b32_e32 v81, 0                                       // 000000002DB0: 7EA20280
	v_mov_b32_e32 v82, 0                                       // 000000002DB4: 7EA40280
	v_mov_b32_e32 v83, 0                                       // 000000002DB8: 7EA60280
	v_mov_b32_e32 v84, 0                                       // 000000002DBC: 7EA80280
	v_mov_b32_e32 v85, 0                                       // 000000002DC0: 7EAA0280
	v_mov_b32_e32 v86, 0                                       // 000000002DC4: 7EAC0280
	v_mov_b32_e32 v87, 0                                       // 000000002DC8: 7EAE0280
	v_mov_b32_e32 v88, 0                                       // 000000002DCC: 7EB00280
	v_mov_b32_e32 v89, 0                                       // 000000002DD0: 7EB20280
	v_mov_b32_e32 v90, 0                                       // 000000002DD4: 7EB40280
	v_mov_b32_e32 v91, 0                                       // 000000002DD8: 7EB60280
	v_mov_b32_e32 v92, 0                                       // 000000002DDC: 7EB80280
	v_mov_b32_e32 v93, 0                                       // 000000002DE0: 7EBA0280
	v_mov_b32_e32 v94, 0                                       // 000000002DE4: 7EBC0280
	v_mov_b32_e32 v95, 0                                       // 000000002DE8: 7EBE0280
	v_mov_b32_e32 v96, 0                                       // 000000002DEC: 7EC00280
	v_mov_b32_e32 v97, 0                                       // 000000002DF0: 7EC20280
	v_mov_b32_e32 v98, 0                                       // 000000002DF4: 7EC40280
	v_mov_b32_e32 v99, 0                                       // 000000002DF8: 7EC60280
	v_mov_b32_e32 v100, 0                                      // 000000002DFC: 7EC80280
	v_mov_b32_e32 v101, 0                                      // 000000002E00: 7ECA0280
	v_mov_b32_e32 v102, 0                                      // 000000002E04: 7ECC0280
	v_mov_b32_e32 v103, 0                                      // 000000002E08: 7ECE0280
	v_mov_b32_e32 v104, 0                                      // 000000002E0C: 7ED00280
	v_mov_b32_e32 v105, 0                                      // 000000002E10: 7ED20280
	v_mov_b32_e32 v106, 0                                      // 000000002E14: 7ED40280
	v_mov_b32_e32 v107, 0                                      // 000000002E18: 7ED60280
	v_mov_b32_e32 v108, 0                                      // 000000002E1C: 7ED80280
	v_mov_b32_e32 v109, 0                                      // 000000002E20: 7EDA0280
	v_mov_b32_e32 v110, 0                                      // 000000002E24: 7EDC0280
	v_mov_b32_e32 v111, 0                                      // 000000002E28: 7EDE0280
	v_mov_b32_e32 v112, 0                                      // 000000002E2C: 7EE00280
	v_mov_b32_e32 v113, 0                                      // 000000002E30: 7EE20280
	v_mov_b32_e32 v114, 0                                      // 000000002E34: 7EE40280
	v_mov_b32_e32 v115, 0                                      // 000000002E38: 7EE60280
	v_mov_b32_e32 v116, 0                                      // 000000002E3C: 7EE80280
	v_mov_b32_e32 v117, 0                                      // 000000002E40: 7EEA0280
	v_mov_b32_e32 v118, 0                                      // 000000002E44: 7EEC0280
	v_mov_b32_e32 v119, 0                                      // 000000002E48: 7EEE0280
	v_mov_b32_e32 v120, 0                                      // 000000002E4C: 7EF00280
	v_mov_b32_e32 v121, 0                                      // 000000002E50: 7EF20280
	v_mov_b32_e32 v122, 0                                      // 000000002E54: 7EF40280
	v_mov_b32_e32 v123, 0                                      // 000000002E58: 7EF60280
	v_mov_b32_e32 v124, 0                                      // 000000002E5C: 7EF80280
	v_mov_b32_e32 v125, 0                                      // 000000002E60: 7EFA0280
	v_mov_b32_e32 v126, 0                                      // 000000002E64: 7EFC0280
	v_mov_b32_e32 v127, 0                                      // 000000002E68: 7EFE0280
	v_mov_b32_e32 v128, 0                                      // 000000002E6C: 7F000280
	v_mov_b32_e32 v129, 0                                      // 000000002E70: 7F020280
	v_mov_b32_e32 v130, 0                                      // 000000002E74: 7F040280
	v_mov_b32_e32 v131, 0                                      // 000000002E78: 7F060280
	v_mov_b32_e32 v132, 0                                      // 000000002E7C: 7F080280
	v_mov_b32_e32 v133, 0                                      // 000000002E80: 7F0A0280
	v_mov_b32_e32 v134, 0                                      // 000000002E84: 7F0C0280
	v_mov_b32_e32 v135, 0                                      // 000000002E88: 7F0E0280
	v_mov_b32_e32 v136, 0                                      // 000000002E8C: 7F100280
	v_mov_b32_e32 v137, 0                                      // 000000002E90: 7F120280
	v_mov_b32_e32 v138, 0                                      // 000000002E94: 7F140280
	v_mov_b32_e32 v139, 0                                      // 000000002E98: 7F160280
	v_mov_b32_e32 v140, 0                                      // 000000002E9C: 7F180280
	v_mov_b32_e32 v141, 0                                      // 000000002EA0: 7F1A0280
	v_mov_b32_e32 v142, 0                                      // 000000002EA4: 7F1C0280
	v_mov_b32_e32 v143, 0                                      // 000000002EA8: 7F1E0280
	v_mov_b32_e32 v144, 0                                      // 000000002EAC: 7F200280
	v_mov_b32_e32 v145, 0                                      // 000000002EB0: 7F220280
	v_mov_b32_e32 v146, 0                                      // 000000002EB4: 7F240280
	v_mov_b32_e32 v147, 0                                      // 000000002EB8: 7F260280
	v_mov_b32_e32 v148, 0                                      // 000000002EBC: 7F280280
	v_mov_b32_e32 v149, 0                                      // 000000002EC0: 7F2A0280
	v_mov_b32_e32 v150, 0                                      // 000000002EC4: 7F2C0280
	v_mov_b32_e32 v151, 0                                      // 000000002EC8: 7F2E0280
	v_mov_b32_e32 v152, 0                                      // 000000002ECC: 7F300280
	v_mov_b32_e32 v153, 0                                      // 000000002ED0: 7F320280
	v_mov_b32_e32 v154, 0                                      // 000000002ED4: 7F340280
	v_mov_b32_e32 v155, 0                                      // 000000002ED8: 7F360280
	v_mov_b32_e32 v156, 0                                      // 000000002EDC: 7F380280
	v_mov_b32_e32 v157, 0                                      // 000000002EE0: 7F3A0280
	v_mov_b32_e32 v158, 0                                      // 000000002EE4: 7F3C0280
	v_mov_b32_e32 v159, 0                                      // 000000002EE8: 7F3E0280
	v_mov_b32_e32 v160, 0                                      // 000000002EEC: 7F400280
	v_mov_b32_e32 v161, 0                                      // 000000002EF0: 7F420280
	v_mov_b32_e32 v162, 0                                      // 000000002EF4: 7F440280
	v_mov_b32_e32 v163, 0                                      // 000000002EF8: 7F460280
	v_mov_b32_e32 v164, 0                                      // 000000002EFC: 7F480280
	v_mov_b32_e32 v165, 0                                      // 000000002F00: 7F4A0280
	v_mov_b32_e32 v166, 0                                      // 000000002F04: 7F4C0280
	v_mov_b32_e32 v167, 0                                      // 000000002F08: 7F4E0280
	v_mov_b32_e32 v168, 0                                      // 000000002F0C: 7F500280
	v_mov_b32_e32 v169, 0                                      // 000000002F10: 7F520280
	v_mov_b32_e32 v170, 0                                      // 000000002F14: 7F540280
	v_mov_b32_e32 v171, 0                                      // 000000002F18: 7F560280
	v_mov_b32_e32 v172, 0                                      // 000000002F1C: 7F580280
	v_mov_b32_e32 v173, 0                                      // 000000002F20: 7F5A0280
	v_mov_b32_e32 v174, 0                                      // 000000002F24: 7F5C0280
	v_mov_b32_e32 v175, 0                                      // 000000002F28: 7F5E0280
	v_mov_b32_e32 v176, 0                                      // 000000002F2C: 7F600280
	v_mov_b32_e32 v177, 0                                      // 000000002F30: 7F620280
	v_mov_b32_e32 v178, 0                                      // 000000002F34: 7F640280
	v_mov_b32_e32 v179, 0                                      // 000000002F38: 7F660280
	v_mov_b32_e32 v180, 0                                      // 000000002F3C: 7F680280
	v_mov_b32_e32 v181, 0                                      // 000000002F40: 7F6A0280
	v_mov_b32_e32 v182, 0                                      // 000000002F44: 7F6C0280
	v_mov_b32_e32 v183, 0                                      // 000000002F48: 7F6E0280
	v_mov_b32_e32 v184, 0                                      // 000000002F4C: 7F700280
	v_mov_b32_e32 v185, 0                                      // 000000002F50: 7F720280
	v_mov_b32_e32 v186, 0                                      // 000000002F54: 7F740280
	v_mov_b32_e32 v187, 0                                      // 000000002F58: 7F760280
	v_mov_b32_e32 v188, 0                                      // 000000002F5C: 7F780280
	v_mov_b32_e32 v189, 0                                      // 000000002F60: 7F7A0280
	v_mov_b32_e32 v190, 0                                      // 000000002F64: 7F7C0280
	v_mov_b32_e32 v191, 0                                      // 000000002F68: 7F7E0280
	v_accvgpr_write_b32 a144, 0                                // 000000002F6C: D3D94090 18000080
	v_accvgpr_write_b32 a145, 0                                // 000000002F74: D3D94091 18000080
	v_accvgpr_write_b32 a146, 0                                // 000000002F7C: D3D94092 18000080
	v_accvgpr_write_b32 a147, 0                                // 000000002F84: D3D94093 18000080
	v_accvgpr_write_b32 a148, 0                                // 000000002F8C: D3D94094 18000080
	v_accvgpr_write_b32 a149, 0                                // 000000002F94: D3D94095 18000080
	v_accvgpr_write_b32 a150, 0                                // 000000002F9C: D3D94096 18000080
	v_accvgpr_write_b32 a151, 0                                // 000000002FA4: D3D94097 18000080
	v_accvgpr_write_b32 a152, 0                                // 000000002FAC: D3D94098 18000080
	v_accvgpr_write_b32 a153, 0                                // 000000002FB4: D3D94099 18000080
	v_accvgpr_write_b32 a154, 0                                // 000000002FBC: D3D9409A 18000080
	v_accvgpr_write_b32 a155, 0                                // 000000002FC4: D3D9409B 18000080
	v_accvgpr_write_b32 a156, 0                                // 000000002FCC: D3D9409C 18000080
	v_accvgpr_write_b32 a157, 0                                // 000000002FD4: D3D9409D 18000080
	v_accvgpr_write_b32 a158, 0                                // 000000002FDC: D3D9409E 18000080
	v_accvgpr_write_b32 a159, 0                                // 000000002FE4: D3D9409F 18000080
	v_accvgpr_write_b32 a160, 0                                // 000000002FEC: D3D940A0 18000080
	v_accvgpr_write_b32 a161, 0                                // 000000002FF4: D3D940A1 18000080
	v_accvgpr_write_b32 a162, 0                                // 000000002FFC: D3D940A2 18000080
	v_accvgpr_write_b32 a163, 0                                // 000000003004: D3D940A3 18000080
	v_accvgpr_write_b32 a164, 0                                // 00000000300C: D3D940A4 18000080
	v_accvgpr_write_b32 a165, 0                                // 000000003014: D3D940A5 18000080
	v_accvgpr_write_b32 a166, 0                                // 00000000301C: D3D940A6 18000080
	v_accvgpr_write_b32 a167, 0                                // 000000003024: D3D940A7 18000080
	v_accvgpr_write_b32 a168, 0                                // 00000000302C: D3D940A8 18000080
	v_accvgpr_write_b32 a169, 0                                // 000000003034: D3D940A9 18000080
	v_accvgpr_write_b32 a170, 0                                // 00000000303C: D3D940AA 18000080
	v_accvgpr_write_b32 a171, 0                                // 000000003044: D3D940AB 18000080
	v_accvgpr_write_b32 a172, 0                                // 00000000304C: D3D940AC 18000080
	v_accvgpr_write_b32 a173, 0                                // 000000003054: D3D940AD 18000080
	v_accvgpr_write_b32 a174, 0                                // 00000000305C: D3D940AE 18000080
	v_accvgpr_write_b32 a175, 0                                // 000000003064: D3D940AF 18000080
	v_accvgpr_write_b32 a176, 0                                // 00000000306C: D3D940B0 18000080
	v_accvgpr_write_b32 a177, 0                                // 000000003074: D3D940B1 18000080
	v_accvgpr_write_b32 a178, 0                                // 00000000307C: D3D940B2 18000080
	v_accvgpr_write_b32 a179, 0                                // 000000003084: D3D940B3 18000080
	v_accvgpr_write_b32 a180, 0                                // 00000000308C: D3D940B4 18000080
	v_accvgpr_write_b32 a181, 0                                // 000000003094: D3D940B5 18000080
	v_accvgpr_write_b32 a182, 0                                // 00000000309C: D3D940B6 18000080
	v_accvgpr_write_b32 a183, 0                                // 0000000030A4: D3D940B7 18000080
	v_accvgpr_write_b32 a184, 0                                // 0000000030AC: D3D940B8 18000080
	v_accvgpr_write_b32 a185, 0                                // 0000000030B4: D3D940B9 18000080
	v_accvgpr_write_b32 a186, 0                                // 0000000030BC: D3D940BA 18000080
	v_accvgpr_write_b32 a187, 0                                // 0000000030C4: D3D940BB 18000080
	v_accvgpr_write_b32 a188, 0                                // 0000000030CC: D3D940BC 18000080
	v_accvgpr_write_b32 a189, 0                                // 0000000030D4: D3D940BD 18000080
	v_accvgpr_write_b32 a190, 0                                // 0000000030DC: D3D940BE 18000080
	v_accvgpr_write_b32 a191, 0                                // 0000000030E4: D3D940BF 18000080
	v_accvgpr_write_b32 a192, 0                                // 0000000030EC: D3D940C0 18000080
	v_accvgpr_write_b32 a193, 0                                // 0000000030F4: D3D940C1 18000080
	v_accvgpr_write_b32 a194, 0                                // 0000000030FC: D3D940C2 18000080
	v_accvgpr_write_b32 a195, 0                                // 000000003104: D3D940C3 18000080
	v_accvgpr_write_b32 a196, 0                                // 00000000310C: D3D940C4 18000080
	v_accvgpr_write_b32 a197, 0                                // 000000003114: D3D940C5 18000080
	v_accvgpr_write_b32 a198, 0                                // 00000000311C: D3D940C6 18000080
	v_accvgpr_write_b32 a199, 0                                // 000000003124: D3D940C7 18000080
	v_accvgpr_write_b32 a200, 0                                // 00000000312C: D3D940C8 18000080
	v_accvgpr_write_b32 a201, 0                                // 000000003134: D3D940C9 18000080
	v_accvgpr_write_b32 a202, 0                                // 00000000313C: D3D940CA 18000080
	v_accvgpr_write_b32 a203, 0                                // 000000003144: D3D940CB 18000080
	v_accvgpr_write_b32 a204, 0                                // 00000000314C: D3D940CC 18000080
	v_accvgpr_write_b32 a205, 0                                // 000000003154: D3D940CD 18000080
	v_accvgpr_write_b32 a206, 0                                // 00000000315C: D3D940CE 18000080
	v_accvgpr_write_b32 a207, 0                                // 000000003164: D3D940CF 18000080
	v_accvgpr_write_b32 a208, 0                                // 00000000316C: D3D940D0 18000080
	v_accvgpr_write_b32 a209, 0                                // 000000003174: D3D940D1 18000080
	v_accvgpr_write_b32 a210, 0                                // 00000000317C: D3D940D2 18000080
	v_accvgpr_write_b32 a211, 0                                // 000000003184: D3D940D3 18000080
	v_accvgpr_write_b32 a212, 0                                // 00000000318C: D3D940D4 18000080
	v_accvgpr_write_b32 a213, 0                                // 000000003194: D3D940D5 18000080
	v_accvgpr_write_b32 a214, 0                                // 00000000319C: D3D940D6 18000080
	v_accvgpr_write_b32 a215, 0                                // 0000000031A4: D3D940D7 18000080
	v_accvgpr_write_b32 a216, 0                                // 0000000031AC: D3D940D8 18000080
	v_accvgpr_write_b32 a217, 0                                // 0000000031B4: D3D940D9 18000080
	v_accvgpr_write_b32 a218, 0                                // 0000000031BC: D3D940DA 18000080
	v_accvgpr_write_b32 a219, 0                                // 0000000031C4: D3D940DB 18000080
	v_accvgpr_write_b32 a220, 0                                // 0000000031CC: D3D940DC 18000080
	v_accvgpr_write_b32 a221, 0                                // 0000000031D4: D3D940DD 18000080
	v_accvgpr_write_b32 a222, 0                                // 0000000031DC: D3D940DE 18000080
	v_accvgpr_write_b32 a223, 0                                // 0000000031E4: D3D940DF 18000080
	v_accvgpr_write_b32 a224, 0                                // 0000000031EC: D3D940E0 18000080
	v_accvgpr_write_b32 a225, 0                                // 0000000031F4: D3D940E1 18000080
	v_accvgpr_write_b32 a226, 0                                // 0000000031FC: D3D940E2 18000080
	v_accvgpr_write_b32 a227, 0                                // 000000003204: D3D940E3 18000080
	v_accvgpr_write_b32 a228, 0                                // 00000000320C: D3D940E4 18000080
	v_accvgpr_write_b32 a229, 0                                // 000000003214: D3D940E5 18000080
	v_accvgpr_write_b32 a230, 0                                // 00000000321C: D3D940E6 18000080
	v_accvgpr_write_b32 a231, 0                                // 000000003224: D3D940E7 18000080
	v_accvgpr_write_b32 a232, 0                                // 00000000322C: D3D940E8 18000080
	v_accvgpr_write_b32 a233, 0                                // 000000003234: D3D940E9 18000080
	v_accvgpr_write_b32 a234, 0                                // 00000000323C: D3D940EA 18000080
	v_accvgpr_write_b32 a235, 0                                // 000000003244: D3D940EB 18000080
	v_accvgpr_write_b32 a236, 0                                // 00000000324C: D3D940EC 18000080
	v_accvgpr_write_b32 a237, 0                                // 000000003254: D3D940ED 18000080
	v_accvgpr_write_b32 a238, 0                                // 00000000325C: D3D940EE 18000080
	v_accvgpr_write_b32 a239, 0                                // 000000003264: D3D940EF 18000080
	v_and_b32_e32 v28, 15, v0                                  // 00000000326C: 2638008F
	v_lshlrev_b32_e32 v28, 4, v28                              // 000000003270: 24383884
	v_and_b32_e32 v29, 31, v0                                  // 000000003274: 263A009F
	v_lshrrev_b32_e32 v29, 4, v29                              // 000000003278: 203A3A84
	s_mov_b32 s56, 0x900                                       // 00000000327C: BEB800FF 00000900
	v_mul_i32_i24_e32 v29, s56, v29                            // 000000003284: 0C3A3A38
	v_add_u32_e32 v18, v28, v29                                // 000000003288: 68243B1C
	v_mov_b32_e32 v19, v18                                     // 00000000328C: 7E260312
	v_and_b32_e32 v28, 15, v0                                  // 000000003290: 2638008F
	v_lshrrev_b32_e32 v28, 3, v28                              // 000000003294: 20383883
	v_lshlrev_b32_e32 v28, 3, v28                              // 000000003298: 24383883
	v_lshrrev_b32_e32 v29, 5, v0                               // 00000000329C: 203A0085
	v_lshlrev_b32_e32 v29, 2, v29                              // 0000000032A0: 243A3A82
	v_add_u32_e32 v18, v18, v28                                // 0000000032A4: 68243912
	v_add_u32_e32 v18, v18, v29                                // 0000000032A8: 68243B12
	v_and_b32_e32 v28, 15, v0                                  // 0000000032AC: 2638008F
	v_lshrrev_b32_e32 v28, 3, v28                              // 0000000032B0: 20383883
	s_mov_b32 s56, 1                                           // 0000000032B4: BEB80081
	v_mov_b32_e32 v29, s56                                     // 0000000032B8: 7E3A0238
	v_xor_b32_e32 v28, v29, v28                                // 0000000032BC: 2A38391D
	v_lshlrev_b32_e32 v28, 3, v28                              // 0000000032C0: 24383883
	v_lshrrev_b32_e32 v29, 5, v0                               // 0000000032C4: 203A0085
	v_lshlrev_b32_e32 v29, 2, v29                              // 0000000032C8: 243A3A82
	v_add_u32_e32 v19, v19, v28                                // 0000000032CC: 68263913
	v_add_u32_e32 v19, v19, v29                                // 0000000032D0: 68263B13
	s_mov_b32 s56, 0                                           // 0000000032D4: BEB80080
	v_lshlrev_b32_e32 v18, 2, v18                              // 0000000032D8: 24242482
	v_lshlrev_b32_e32 v19, 2, v19                              // 0000000032DC: 24262682
	s_mov_b32 s56, 0xb000                                      // 0000000032E0: BEB800FF 0000B000
	v_add_u32_e32 v18, s56, v18                                // 0000000032E8: 68242438
	v_add_u32_e32 v19, s56, v19                                // 0000000032EC: 68262638
	s_mov_b32 s57, 0x9000                                      // 0000000032F0: BEB900FF 00009000
	v_add_u32_e32 v20, s57, v18                                // 0000000032F8: 68282439
	v_add_u32_e32 v21, s57, v19                                // 0000000032FC: 682A2639
	v_add_u32_e32 v22, s57, v20                                // 000000003300: 682C2839
	v_add_u32_e32 v23, s57, v21                                // 000000003304: 682E2A39
	v_and_b32_e32 v28, 15, v0                                  // 000000003308: 2638008F
	v_lshrrev_b32_e32 v28, 1, v28                              // 00000000330C: 20383881
	v_lshlrev_b32_e32 v28, 4, v28                              // 000000003310: 24383884
	v_and_b32_e32 v29, 1, v0                                   // 000000003314: 263A0081
	v_lshlrev_b32_e32 v29, 1, v29                              // 000000003318: 243A3A81
	v_and_b32_e32 v30, 31, v0                                  // 00000000331C: 263C009F
	v_lshrrev_b32_e32 v30, 4, v30                              // 000000003320: 203C3C84
	v_lshlrev_b32_e32 v30, 2, v30                              // 000000003324: 243C3C82
	v_lshrrev_b32_e32 v31, 5, v0                               // 000000003328: 203E0085
	s_mov_b32 s56, 0x900                                       // 00000000332C: BEB800FF 00000900
	v_mul_i32_i24_e32 v31, s56, v31                            // 000000003334: 0C3E3E38
	v_add_u32_e32 v5, v28, v29                                 // 000000003338: 680A3B1C
	v_add_u32_e32 v5, v30, v5                                  // 00000000333C: 680A0B1E
	v_add_u32_e32 v5, v31, v5                                  // 000000003340: 680A0B1F
	s_mov_b32 s56, 0x88                                        // 000000003344: BEB800FF 00000088
	v_add_u32_e32 v6, s56, v5                                  // 00000000334C: 680C0A38
	s_mov_b32 s56, 8                                           // 000000003350: BEB80088
	v_add_u32_e32 v7, s56, v5                                  // 000000003354: 680E0A38
	s_mov_b32 s56, 0x80                                        // 000000003358: BEB800FF 00000080
	v_add_u32_e32 v8, s56, v5                                  // 000000003360: 68100A38
	v_lshlrev_b32_e32 v5, 2, v5                                // 000000003364: 240A0A82
	v_lshlrev_b32_e32 v6, 2, v6                                // 000000003368: 240C0C82
	v_lshlrev_b32_e32 v7, 2, v7                                // 00000000336C: 240E0E82
	v_lshlrev_b32_e32 v8, 2, v8                                // 000000003370: 24101082
	s_mov_b32 s56, 0xb000                                      // 000000003374: BEB800FF 0000B000
	v_add_u32_e32 v5, s56, v5                                  // 00000000337C: 680A0A38
	v_add_u32_e32 v6, s56, v6                                  // 000000003380: 680C0C38
	v_add_u32_e32 v7, s56, v7                                  // 000000003384: 680E0E38
	v_add_u32_e32 v8, s56, v8                                  // 000000003388: 68101038
	s_mov_b32 s56, 0x9000                                      // 00000000338C: BEB800FF 00009000
	v_add_u32_e32 v9, s56, v5                                  // 000000003394: 68120A38
	v_add_u32_e32 v10, s56, v6                                 // 000000003398: 68140C38
	v_add_u32_e32 v11, s56, v7                                 // 00000000339C: 68160E38
	v_add_u32_e32 v12, s56, v8                                 // 0000000033A0: 68181038
	v_add_u32_e32 v13, s56, v9                                 // 0000000033A4: 681A1238
	v_add_u32_e32 v14, s56, v10                                // 0000000033A8: 681C1438
	v_add_u32_e32 v15, s56, v11                                // 0000000033AC: 681E1638
	v_add_u32_e32 v16, s56, v12                                // 0000000033B0: 68201838
	v_mul_u32_u24_e64 v31, v25, s68                            // 0000000033B4: D108001F 00008919
	v_add_u32_e32 v31, v31, v1                                 // 0000000033BC: 683E031F
	s_mov_b32 s56, 0x1d000                                     // 0000000033C0: BEB800FF 0001D000
	s_mul_i32 s57, s7, 0x2400                                  // 0000000033C8: 9239FF07 00002400
	s_add_u32 m0, s56, s57                                     // 0000000033D0: 807C3938
	buffer_load_dwordx4 v31, s[20:23], 0 offen lds             // 0000000033D4: E05D1000 8005001F
	s_add_i32 m0, m0, 0x3c0                                    // 0000000033DC: 817CFF7C 000003C0
	buffer_load_dwordx4 v31, s[20:23], 0 offen offset:64 lds   // 0000000033E4: E05D1040 8005001F
	s_add_i32 m0, m0, 0x3c0                                    // 0000000033EC: 817CFF7C 000003C0
	buffer_load_dwordx4 v31, s[20:23], 0 offen offset:128 lds  // 0000000033F4: E05D1080 8005001F
	s_add_i32 m0, m0, 0x3c0                                    // 0000000033FC: 817CFF7C 000003C0
	buffer_load_dwordx4 v31, s[20:23], 0 offen offset:192 lds  // 000000003404: E05D10C0 8005001F
	s_add_i32 m0, m0, 0x3c0                                    // 00000000340C: 817CFF7C 000003C0
	buffer_load_dwordx4 v31, s[20:23], 0 offen offset:256 lds  // 000000003414: E05D1100 8005001F
	s_add_i32 m0, m0, 0x3c0                                    // 00000000341C: 817CFF7C 000003C0
	buffer_load_dwordx4 v31, s[20:23], 0 offen offset:320 lds  // 000000003424: E05D1140 8005001F
	s_add_i32 m0, m0, 0x3c0                                    // 00000000342C: 817CFF7C 000003C0
	buffer_load_dwordx4 v31, s[20:23], 0 offen offset:384 lds  // 000000003434: E05D1180 8005001F
	s_add_i32 m0, m0, 0x3c0                                    // 00000000343C: 817CFF7C 000003C0
	buffer_load_dwordx4 v31, s[20:23], 0 offen offset:448 lds  // 000000003444: E05D11C0 8005001F
	s_add_i32 m0, m0, 0x3c0                                    // 00000000344C: 817CFF7C 000003C0
	buffer_load_dwordx4 v31, s[20:23], 0 offen offset:512 lds  // 000000003454: E05D1200 8005001F
	s_add_i32 m0, m0, 0x3c0                                    // 00000000345C: 817CFF7C 000003C0
	buffer_load_dword v24, v27, s[24:27], 0 offen              // 000000003464: E0501000 8006181B
	v_add_u32_e32 v27, s73, v27                                // 00000000346C: 68363649
	s_waitcnt vmcnt(10)                                        // 000000003470: BF8C0F7A
	s_barrier                                                  // 000000003474: BF8A0000
	s_waitcnt lgkmcnt(0)                                       // 000000003478: BF8CC07F
	ds_read_b128 a[72:75], v20                                 // 00000000347C: DBFE0000 48000014
	ds_read_b128 a[76:79], v21                                 // 000000003484: DBFE0000 4C000015
	ds_read_b128 a[80:83], v20 offset:1024                     // 00000000348C: DBFE0400 50000014
	ds_read_b128 a[84:87], v21 offset:1024                     // 000000003494: DBFE0400 54000015
	ds_read_b128 a[88:91], v20 offset:2048                     // 00000000349C: DBFE0800 58000014
	ds_read_b128 a[92:95], v21 offset:2048                     // 0000000034A4: DBFE0800 5C000015
	ds_read_b128 a[96:99], v20 offset:3072                     // 0000000034AC: DBFE0C00 60000014
	ds_read_b128 a[100:103], v21 offset:3072                   // 0000000034B4: DBFE0C00 64000015
	ds_read_b128 a[104:107], v20 offset:4096                   // 0000000034BC: DBFE1000 68000014
	ds_read_b128 a[108:111], v21 offset:4096                   // 0000000034C4: DBFE1000 6C000015
	ds_read_b128 a[112:115], v20 offset:5120                   // 0000000034CC: DBFE1400 70000014
	ds_read_b128 a[116:119], v21 offset:5120                   // 0000000034D4: DBFE1400 74000015
	ds_read_b128 a[120:123], v20 offset:6144                   // 0000000034DC: DBFE1800 78000014
	ds_read_b128 a[124:127], v21 offset:6144                   // 0000000034E4: DBFE1800 7C000015
	ds_read_b128 a[128:131], v20 offset:7168                   // 0000000034EC: DBFE1C00 80000014
	ds_read_b128 a[132:135], v21 offset:7168                   // 0000000034F4: DBFE1C00 84000015
	ds_read_b128 a[136:139], v20 offset:8192                   // 0000000034FC: DBFE2000 88000014
	ds_read_b128 a[140:143], v21 offset:8192                   // 000000003504: DBFE2000 8C000015
	s_cmp_lt_u32 s71, 1                                        // 00000000350C: BF0A8147
	s_cbranch_scc1 label_9478                                  // 000000003510: BF8520D9
	s_cmp_lt_i32 s7, 2                                         // 000000003514: BF048207
	s_cbranch_scc0 label_52CC                                  // 000000003518: BF84106C

000000000000351c <label_111C>:
	s_waitcnt lgkmcnt(4)                                       // 00000000351C: BF8CC47F
	v_mfma_f32_32x32x64_f8f6f4 v[32:47], a[72:79], a[0:7], 0   // 000000003520: D3AE0020 1A020148
	v_mul_u32_u24_e64 v31, v26, s68                            // 000000003528: D108001F 0000891A
	v_add_u32_e32 v31, v31, v1                                 // 000000003530: 683E031F
	buffer_load_dword v25, v27, s[24:27], 0 offen              // 000000003534: E0501000 8006191B
	v_mfma_f32_32x32x64_f8f6f4 v[32:47], a[80:87], a[8:15], v[32:47]// 00000000353C: D3AE0020 1C821150
	s_mov_b32 s56, 0xb000                                      // 000000003544: BEB800FF 0000B000
	s_mul_i32 s57, s7, 0x2400                                  // 00000000354C: 9239FF07 00002400
	s_add_u32 m0, s56, s57                                     // 000000003554: 807C3938
	buffer_load_dwordx4 v31, s[20:23], 0 offen lds             // 000000003558: E05D1000 8005001F
	s_add_i32 m0, m0, 0x3c0                                    // 000000003560: 817CFF7C 000003C0
	v_mfma_f32_32x32x64_f8f6f4 v[32:47], a[88:95], a[16:23], v[32:47]// 000000003568: D3AE0020 1C822158
	ds_read_b128 a[72:75], v20 offset:18432                    // 000000003570: DBFE4800 48000014
	ds_read_b128 a[76:79], v21 offset:18432                    // 000000003578: DBFE4800 4C000015
	v_mfma_f32_32x32x64_f8f6f4 v[32:47], a[96:103], a[24:31], v[32:47]// 000000003580: D3AE0020 1C823160
	buffer_load_dwordx4 v31, s[20:23], 0 offen offset:64 lds   // 000000003588: E05D1040 8005001F
	s_add_i32 m0, m0, 0x3c0                                    // 000000003590: 817CFF7C 000003C0
	ds_read_b128 a[80:83], v20 offset:19456                    // 000000003598: DBFE4C00 50000014
	ds_read_b128 a[84:87], v21 offset:19456                    // 0000000035A0: DBFE4C00 54000015
	v_mfma_f32_32x32x64_f8f6f4 v[32:47], a[104:111], a[32:39], v[32:47]// 0000000035A8: D3AE0020 1C824168
	ds_read_b128 a[88:91], v20 offset:20480                    // 0000000035B0: DBFE5000 58000014
	ds_read_b128 a[92:95], v21 offset:20480                    // 0000000035B8: DBFE5000 5C000015
	v_mfma_f32_32x32x64_f8f6f4 v[32:47], a[112:119], a[40:47], v[32:47]// 0000000035C0: D3AE0020 1C825170
	buffer_load_dwordx4 v31, s[20:23], 0 offen offset:128 lds  // 0000000035C8: E05D1080 8005001F
	s_add_i32 m0, m0, 0x3c0                                    // 0000000035D0: 817CFF7C 000003C0
	ds_read_b128 a[96:99], v20 offset:21504                    // 0000000035D8: DBFE5400 60000014
	ds_read_b128 a[100:103], v21 offset:21504                  // 0000000035E0: DBFE5400 64000015
	v_mfma_f32_32x32x64_f8f6f4 v[32:47], a[120:127], a[48:55], v[32:47]// 0000000035E8: D3AE0020 1C826178
	ds_read_b128 a[104:107], v20 offset:22528                  // 0000000035F0: DBFE5800 68000014
	ds_read_b128 a[108:111], v21 offset:22528                  // 0000000035F8: DBFE5800 6C000015
	v_mfma_f32_32x32x64_f8f6f4 v[32:47], a[128:135], a[56:63], v[32:47]// 000000003600: D3AE0020 1C827180
	buffer_load_dwordx4 v31, s[20:23], 0 offen offset:192 lds  // 000000003608: E05D10C0 8005001F
	s_add_i32 m0, m0, 0x3c0                                    // 000000003610: 817CFF7C 000003C0
	ds_read_b128 a[112:115], v20 offset:23552                  // 000000003618: DBFE5C00 70000014
	ds_read_b128 a[116:119], v21 offset:23552                  // 000000003620: DBFE5C00 74000015
	v_mfma_f32_32x32x64_f8f6f4 v[32:47], a[136:143], a[64:71], v[32:47]// 000000003628: D3AE0020 1C828188
	ds_read_b128 a[120:123], v20 offset:24576                  // 000000003630: DBFE6000 78000014
	ds_read_b128 a[124:127], v21 offset:24576                  // 000000003638: DBFE6000 7C000015
	buffer_load_dwordx4 v31, s[20:23], 0 offen offset:256 lds  // 000000003640: E05D1100 8005001F
	s_add_i32 m0, m0, 0x3c0                                    // 000000003648: 817CFF7C 000003C0
	buffer_load_dwordx4 v31, s[20:23], 0 offen offset:320 lds  // 000000003650: E05D1140 8005001F
	s_add_i32 m0, m0, 0x3c0                                    // 000000003658: 817CFF7C 000003C0
	buffer_load_dwordx4 v31, s[20:23], 0 offen offset:384 lds  // 000000003660: E05D1180 8005001F
	s_add_i32 m0, m0, 0x3c0                                    // 000000003668: 817CFF7C 000003C0
	buffer_load_dwordx4 v31, s[20:23], 0 offen offset:448 lds  // 000000003670: E05D11C0 8005001F
	s_add_i32 m0, m0, 0x3c0                                    // 000000003678: 817CFF7C 000003C0
	buffer_load_dwordx4 v31, s[20:23], 0 offen offset:512 lds  // 000000003680: E05D1200 8005001F
	s_add_i32 m0, m0, 0x3c0                                    // 000000003688: 817CFF7C 000003C0
	ds_read_b128 a[128:131], v20 offset:25600                  // 000000003690: DBFE6400 80000014
	ds_read_b128 a[132:135], v21 offset:25600                  // 000000003698: DBFE6400 84000015
	ds_read_b128 a[136:139], v20 offset:26624                  // 0000000036A0: DBFE6800 88000014
	ds_read_b128 a[140:143], v21 offset:26624                  // 0000000036A8: DBFE6800 8C000015
	v_add_u32_e32 v27, s73, v27                                // 0000000036B0: 68363649
	s_waitcnt lgkmcnt(4)                                       // 0000000036B4: BF8CC47F
	v_mfma_f32_32x32x64_f8f6f4 v[48:63], a[72:79], a[0:7], 0   // 0000000036B8: D3AE0030 1A020148
	v_mfma_f32_32x32x64_f8f6f4 v[48:63], a[80:87], a[8:15], v[48:63]// 0000000036C0: D3AE0030 1CC21150
	v_mfma_f32_32x32x64_f8f6f4 v[48:63], a[88:95], a[16:23], v[48:63]// 0000000036C8: D3AE0030 1CC22158
	ds_read_b64_tr_b8 a[72:73], v9                             // 0000000036D0: DBC40000 48000009
	ds_read_b64_tr_b8 a[74:75], v10                            // 0000000036D8: DBC40000 4A00000A
	ds_read_b64_tr_b8 a[76:77], v9 offset:18432                // 0000000036E0: DBC44800 4C000009
	ds_read_b64_tr_b8 a[78:79], v10 offset:18432               // 0000000036E8: DBC44800 4E00000A
	v_mfma_f32_32x32x64_f8f6f4 v[48:63], a[96:103], a[24:31], v[48:63]// 0000000036F0: D3AE0030 1CC23160
	ds_read_b64_tr_b8 a[80:81], v11                            // 0000000036F8: DBC40000 5000000B
	ds_read_b64_tr_b8 a[82:83], v12                            // 000000003700: DBC40000 5200000C
	ds_read_b64_tr_b8 a[84:85], v11 offset:18432               // 000000003708: DBC44800 5400000B
	ds_read_b64_tr_b8 a[86:87], v12 offset:18432               // 000000003710: DBC44800 5600000C
	v_mfma_f32_32x32x64_f8f6f4 v[48:63], a[104:111], a[32:39], v[48:63]// 000000003718: D3AE0030 1CC24168
	ds_read_b64_tr_b8 a[88:89], v9 offset:1024                 // 000000003720: DBC40400 58000009
	ds_read_b64_tr_b8 a[90:91], v10 offset:1024                // 000000003728: DBC40400 5A00000A
	ds_read_b64_tr_b8 a[92:93], v9 offset:19456                // 000000003730: DBC44C00 5C000009
	ds_read_b64_tr_b8 a[94:95], v10 offset:19456               // 000000003738: DBC44C00 5E00000A
	v_mfma_f32_32x32x64_f8f6f4 v[48:63], a[112:119], a[40:47], v[48:63]// 000000003740: D3AE0030 1CC25170
	ds_read_b64_tr_b8 a[96:97], v11 offset:1024                // 000000003748: DBC40400 6000000B
	ds_read_b64_tr_b8 a[98:99], v12 offset:1024                // 000000003750: DBC40400 6200000C
	ds_read_b64_tr_b8 a[100:101], v11 offset:19456             // 000000003758: DBC44C00 6400000B
	ds_read_b64_tr_b8 a[102:103], v12 offset:19456             // 000000003760: DBC44C00 6600000C
	v_mfma_f32_32x32x64_f8f6f4 v[48:63], a[120:127], a[48:55], v[48:63]// 000000003768: D3AE0030 1CC26178
	ds_read_b64_tr_b8 a[104:105], v9 offset:2048               // 000000003770: DBC40800 68000009
	ds_read_b64_tr_b8 a[106:107], v10 offset:2048              // 000000003778: DBC40800 6A00000A
	ds_read_b64_tr_b8 a[108:109], v9 offset:20480              // 000000003780: DBC45000 6C000009
	ds_read_b64_tr_b8 a[110:111], v10 offset:20480             // 000000003788: DBC45000 6E00000A
	v_mfma_f32_32x32x64_f8f6f4 v[48:63], a[128:135], a[56:63], v[48:63]// 000000003790: D3AE0030 1CC27180
	ds_read_b64_tr_b8 a[112:113], v11 offset:2048              // 000000003798: DBC40800 7000000B
	ds_read_b64_tr_b8 a[114:115], v12 offset:2048              // 0000000037A0: DBC40800 7200000C
	ds_read_b64_tr_b8 a[116:117], v11 offset:20480             // 0000000037A8: DBC45000 7400000B
	ds_read_b64_tr_b8 a[118:119], v12 offset:20480             // 0000000037B0: DBC45000 7600000C
	v_mfma_f32_32x32x64_f8f6f4 v[48:63], a[136:143], a[64:71], v[48:63]// 0000000037B8: D3AE0030 1CC28188
	ds_read_b64_tr_b8 a[120:121], v9 offset:3072               // 0000000037C0: DBC40C00 78000009
	ds_read_b64_tr_b8 a[122:123], v10 offset:3072              // 0000000037C8: DBC40C00 7A00000A
	ds_read_b64_tr_b8 a[124:125], v9 offset:21504              // 0000000037D0: DBC45400 7C000009
	ds_read_b64_tr_b8 a[126:127], v10 offset:21504             // 0000000037D8: DBC45400 7E00000A
	ds_read_b64_tr_b8 a[128:129], v11 offset:3072              // 0000000037E0: DBC40C00 8000000B
	ds_read_b64_tr_b8 a[130:131], v12 offset:3072              // 0000000037E8: DBC40C00 8200000C
	ds_read_b64_tr_b8 a[132:133], v11 offset:21504             // 0000000037F0: DBC45400 8400000B
	ds_read_b64_tr_b8 a[134:135], v12 offset:21504             // 0000000037F8: DBC45400 8600000C
	s_cmp_le_i32 s83, s82                                      // 000000003800: BF055253
	s_cbranch_scc1 label_1758                                  // 000000003804: BF8500D4
	v_mov_b32_e32 v28, s82                                     // 000000003808: 7E380252
	s_cmp_eq_i32 s81, 1                                        // 00000000380C: BF008151
	s_cbranch_scc1 label_1434                                  // 000000003810: BF850008
	s_cmp_eq_i32 s81, 2                                        // 000000003814: BF008251
	s_cbranch_scc1 label_1428                                  // 000000003818: BF850003
	v_add_i32 v28, s7, v28                                     // 00000000381C: D29C001C 00023807
	s_branch label_1434                                        // 000000003824: BF820003

0000000000003828 <label_1428>:
	s_lshr_b32 s56, s7, 1                                      // 000000003828: 8F388107
	v_add_u32_e32 v28, s56, v28                                // 00000000382C: 68383838
	s_branch label_1434                                        // 000000003830: BF820000

0000000000003834 <label_1434>:
	s_sub_u32 s56, s83, 63                                     // 000000003834: 80B8BF53
	v_lshrrev_b32_e32 v223, 5, v0                              // 000000003838: 21BE0085
	v_mul_i32_i24_e32 v223, 4, v223                            // 00000000383C: 0DBFBE84
	v_add_u32_e32 v223, s56, v223                              // 000000003840: 69BFBE38
	v_add_u32_e32 v224, 1, v223                                // 000000003844: 69C1BE81
	v_add_u32_e32 v225, 2, v223                                // 000000003848: 69C3BE82
	v_add_u32_e32 v226, 3, v223                                // 00000000384C: 69C5BE83
	v_mov_b32_e32 v31, 0xff800000                              // 000000003850: 7E3E02FF FF800000
	v_cmp_le_i32_e64 s[36:37], v223, v28                       // 000000003858: D0C30024 000239DF
	s_nop 0                                                    // 000000003860: BF800000
	v_cndmask_b32_e64 v32, v31, v32, s[36:37]                  // 000000003864: D1000020 0092411F
	v_add_u32_e32 v223, 8, v223                                // 00000000386C: 69BFBE88
	v_cmp_le_i32_e64 s[36:37], v224, v28                       // 000000003870: D0C30024 000239E0
	s_nop 0                                                    // 000000003878: BF800000
	v_cndmask_b32_e64 v33, v31, v33, s[36:37]                  // 00000000387C: D1000021 0092431F
	v_add_u32_e32 v224, 8, v224                                // 000000003884: 69C1C088
	v_cmp_le_i32_e64 s[36:37], v225, v28                       // 000000003888: D0C30024 000239E1
	s_nop 0                                                    // 000000003890: BF800000
	v_cndmask_b32_e64 v34, v31, v34, s[36:37]                  // 000000003894: D1000022 0092451F
	v_add_u32_e32 v225, 8, v225                                // 00000000389C: 69C3C288
	v_cmp_le_i32_e64 s[36:37], v226, v28                       // 0000000038A0: D0C30024 000239E2
	s_nop 0                                                    // 0000000038A8: BF800000
	v_cndmask_b32_e64 v35, v31, v35, s[36:37]                  // 0000000038AC: D1000023 0092471F
	v_add_u32_e32 v226, 8, v226                                // 0000000038B4: 69C5C488
	v_cmp_le_i32_e64 s[36:37], v223, v28                       // 0000000038B8: D0C30024 000239DF
	s_nop 0                                                    // 0000000038C0: BF800000
	v_cndmask_b32_e64 v36, v31, v36, s[36:37]                  // 0000000038C4: D1000024 0092491F
	v_add_u32_e32 v223, 8, v223                                // 0000000038CC: 69BFBE88
	v_cmp_le_i32_e64 s[36:37], v224, v28                       // 0000000038D0: D0C30024 000239E0
	s_nop 0                                                    // 0000000038D8: BF800000
	v_cndmask_b32_e64 v37, v31, v37, s[36:37]                  // 0000000038DC: D1000025 00924B1F
	v_add_u32_e32 v224, 8, v224                                // 0000000038E4: 69C1C088
	v_cmp_le_i32_e64 s[36:37], v225, v28                       // 0000000038E8: D0C30024 000239E1
	s_nop 0                                                    // 0000000038F0: BF800000
	v_cndmask_b32_e64 v38, v31, v38, s[36:37]                  // 0000000038F4: D1000026 00924D1F
	v_add_u32_e32 v225, 8, v225                                // 0000000038FC: 69C3C288
	v_cmp_le_i32_e64 s[36:37], v226, v28                       // 000000003900: D0C30024 000239E2
	s_nop 0                                                    // 000000003908: BF800000
	v_cndmask_b32_e64 v39, v31, v39, s[36:37]                  // 00000000390C: D1000027 00924F1F
	v_add_u32_e32 v226, 8, v226                                // 000000003914: 69C5C488
	v_cmp_le_i32_e64 s[36:37], v223, v28                       // 000000003918: D0C30024 000239DF
	s_nop 0                                                    // 000000003920: BF800000
	v_cndmask_b32_e64 v40, v31, v40, s[36:37]                  // 000000003924: D1000028 0092511F
	v_add_u32_e32 v223, 8, v223                                // 00000000392C: 69BFBE88
	v_cmp_le_i32_e64 s[36:37], v224, v28                       // 000000003930: D0C30024 000239E0
	s_nop 0                                                    // 000000003938: BF800000
	v_cndmask_b32_e64 v41, v31, v41, s[36:37]                  // 00000000393C: D1000029 0092531F
	v_add_u32_e32 v224, 8, v224                                // 000000003944: 69C1C088
	v_cmp_le_i32_e64 s[36:37], v225, v28                       // 000000003948: D0C30024 000239E1
	s_nop 0                                                    // 000000003950: BF800000
	v_cndmask_b32_e64 v42, v31, v42, s[36:37]                  // 000000003954: D100002A 0092551F
	v_add_u32_e32 v225, 8, v225                                // 00000000395C: 69C3C288
	v_cmp_le_i32_e64 s[36:37], v226, v28                       // 000000003960: D0C30024 000239E2
	s_nop 0                                                    // 000000003968: BF800000
	v_cndmask_b32_e64 v43, v31, v43, s[36:37]                  // 00000000396C: D100002B 0092571F
	v_add_u32_e32 v226, 8, v226                                // 000000003974: 69C5C488
	v_cmp_le_i32_e64 s[36:37], v223, v28                       // 000000003978: D0C30024 000239DF
	s_nop 0                                                    // 000000003980: BF800000
	v_cndmask_b32_e64 v44, v31, v44, s[36:37]                  // 000000003984: D100002C 0092591F
	v_add_u32_e32 v223, 8, v223                                // 00000000398C: 69BFBE88
	v_cmp_le_i32_e64 s[36:37], v224, v28                       // 000000003990: D0C30024 000239E0
	s_nop 0                                                    // 000000003998: BF800000
	v_cndmask_b32_e64 v45, v31, v45, s[36:37]                  // 00000000399C: D100002D 00925B1F
	v_add_u32_e32 v224, 8, v224                                // 0000000039A4: 69C1C088
	v_cmp_le_i32_e64 s[36:37], v225, v28                       // 0000000039A8: D0C30024 000239E1
	s_nop 0                                                    // 0000000039B0: BF800000
	v_cndmask_b32_e64 v46, v31, v46, s[36:37]                  // 0000000039B4: D100002E 00925D1F
	v_add_u32_e32 v225, 8, v225                                // 0000000039BC: 69C3C288
	v_cmp_le_i32_e64 s[36:37], v226, v28                       // 0000000039C0: D0C30024 000239E2
	s_nop 0                                                    // 0000000039C8: BF800000
	v_cndmask_b32_e64 v47, v31, v47, s[36:37]                  // 0000000039CC: D100002F 00925F1F
	v_add_u32_e32 v226, 8, v226                                // 0000000039D4: 69C5C488
	v_cmp_le_i32_e64 s[36:37], v223, v28                       // 0000000039D8: D0C30024 000239DF
	s_nop 0                                                    // 0000000039E0: BF800000
	v_cndmask_b32_e64 v48, v31, v48, s[36:37]                  // 0000000039E4: D1000030 0092611F
	v_add_u32_e32 v223, 8, v223                                // 0000000039EC: 69BFBE88
	v_cmp_le_i32_e64 s[36:37], v224, v28                       // 0000000039F0: D0C30024 000239E0
	s_nop 0                                                    // 0000000039F8: BF800000
	v_cndmask_b32_e64 v49, v31, v49, s[36:37]                  // 0000000039FC: D1000031 0092631F
	v_add_u32_e32 v224, 8, v224                                // 000000003A04: 69C1C088
	v_cmp_le_i32_e64 s[36:37], v225, v28                       // 000000003A08: D0C30024 000239E1
	s_nop 0                                                    // 000000003A10: BF800000
	v_cndmask_b32_e64 v50, v31, v50, s[36:37]                  // 000000003A14: D1000032 0092651F
	v_add_u32_e32 v225, 8, v225                                // 000000003A1C: 69C3C288
	v_cmp_le_i32_e64 s[36:37], v226, v28                       // 000000003A20: D0C30024 000239E2
	s_nop 0                                                    // 000000003A28: BF800000
	v_cndmask_b32_e64 v51, v31, v51, s[36:37]                  // 000000003A2C: D1000033 0092671F
	v_add_u32_e32 v226, 8, v226                                // 000000003A34: 69C5C488
	v_cmp_le_i32_e64 s[36:37], v223, v28                       // 000000003A38: D0C30024 000239DF
	s_nop 0                                                    // 000000003A40: BF800000
	v_cndmask_b32_e64 v52, v31, v52, s[36:37]                  // 000000003A44: D1000034 0092691F
	v_add_u32_e32 v223, 8, v223                                // 000000003A4C: 69BFBE88
	v_cmp_le_i32_e64 s[36:37], v224, v28                       // 000000003A50: D0C30024 000239E0
	s_nop 0                                                    // 000000003A58: BF800000
	v_cndmask_b32_e64 v53, v31, v53, s[36:37]                  // 000000003A5C: D1000035 00926B1F
	v_add_u32_e32 v224, 8, v224                                // 000000003A64: 69C1C088
	v_cmp_le_i32_e64 s[36:37], v225, v28                       // 000000003A68: D0C30024 000239E1
	s_nop 0                                                    // 000000003A70: BF800000
	v_cndmask_b32_e64 v54, v31, v54, s[36:37]                  // 000000003A74: D1000036 00926D1F
	v_add_u32_e32 v225, 8, v225                                // 000000003A7C: 69C3C288
	v_cmp_le_i32_e64 s[36:37], v226, v28                       // 000000003A80: D0C30024 000239E2
	s_nop 0                                                    // 000000003A88: BF800000
	v_cndmask_b32_e64 v55, v31, v55, s[36:37]                  // 000000003A8C: D1000037 00926F1F
	v_add_u32_e32 v226, 8, v226                                // 000000003A94: 69C5C488
	v_cmp_le_i32_e64 s[36:37], v223, v28                       // 000000003A98: D0C30024 000239DF
	s_nop 0                                                    // 000000003AA0: BF800000
	v_cndmask_b32_e64 v56, v31, v56, s[36:37]                  // 000000003AA4: D1000038 0092711F
	v_add_u32_e32 v223, 8, v223                                // 000000003AAC: 69BFBE88
	v_cmp_le_i32_e64 s[36:37], v224, v28                       // 000000003AB0: D0C30024 000239E0
	s_nop 0                                                    // 000000003AB8: BF800000
	v_cndmask_b32_e64 v57, v31, v57, s[36:37]                  // 000000003ABC: D1000039 0092731F
	v_add_u32_e32 v224, 8, v224                                // 000000003AC4: 69C1C088
	v_cmp_le_i32_e64 s[36:37], v225, v28                       // 000000003AC8: D0C30024 000239E1
	s_nop 0                                                    // 000000003AD0: BF800000
	v_cndmask_b32_e64 v58, v31, v58, s[36:37]                  // 000000003AD4: D100003A 0092751F
	v_add_u32_e32 v225, 8, v225                                // 000000003ADC: 69C3C288
	v_cmp_le_i32_e64 s[36:37], v226, v28                       // 000000003AE0: D0C30024 000239E2
	s_nop 0                                                    // 000000003AE8: BF800000
	v_cndmask_b32_e64 v59, v31, v59, s[36:37]                  // 000000003AEC: D100003B 0092771F
	v_add_u32_e32 v226, 8, v226                                // 000000003AF4: 69C5C488
	v_cmp_le_i32_e64 s[36:37], v223, v28                       // 000000003AF8: D0C30024 000239DF
	s_nop 0                                                    // 000000003B00: BF800000
	v_cndmask_b32_e64 v60, v31, v60, s[36:37]                  // 000000003B04: D100003C 0092791F
	v_add_u32_e32 v223, 8, v223                                // 000000003B0C: 69BFBE88
	v_cmp_le_i32_e64 s[36:37], v224, v28                       // 000000003B10: D0C30024 000239E0
	s_nop 0                                                    // 000000003B18: BF800000
	v_cndmask_b32_e64 v61, v31, v61, s[36:37]                  // 000000003B1C: D100003D 00927B1F
	v_add_u32_e32 v224, 8, v224                                // 000000003B24: 69C1C088
	v_cmp_le_i32_e64 s[36:37], v225, v28                       // 000000003B28: D0C30024 000239E1
	s_nop 0                                                    // 000000003B30: BF800000
	v_cndmask_b32_e64 v62, v31, v62, s[36:37]                  // 000000003B34: D100003E 00927D1F
	v_add_u32_e32 v225, 8, v225                                // 000000003B3C: 69C3C288
	v_cmp_le_i32_e64 s[36:37], v226, v28                       // 000000003B40: D0C30024 000239E2
	s_nop 0                                                    // 000000003B48: BF800000
	v_cndmask_b32_e64 v63, v31, v63, s[36:37]                  // 000000003B4C: D100003F 00927F1F
	v_add_u32_e32 v226, 8, v226                                // 000000003B54: 69C5C488

0000000000003b58 <label_1758>:
	s_add_u32 s83, s84, s83                                    // 000000003B58: 80535354
	s_nop 2                                                    // 000000003B5C: BF800002
	v_mov_b32_e32 v29, v32                                     // 000000003B60: 7E3A0320
	v_max3_f32 v29, v32, v33, v29                              // 000000003B64: D1D3001D 04764320
	v_max3_f32 v29, v34, v35, v29                              // 000000003B6C: D1D3001D 04764722
	v_max3_f32 v29, v36, v37, v29                              // 000000003B74: D1D3001D 04764B24
	v_max3_f32 v29, v38, v39, v29                              // 000000003B7C: D1D3001D 04764F26
	v_max3_f32 v29, v40, v41, v29                              // 000000003B84: D1D3001D 04765328
	v_max3_f32 v29, v42, v43, v29                              // 000000003B8C: D1D3001D 0476572A
	v_max3_f32 v29, v44, v45, v29                              // 000000003B94: D1D3001D 04765B2C
	v_max3_f32 v29, v46, v47, v29                              // 000000003B9C: D1D3001D 04765F2E
	v_max3_f32 v29, v48, v49, v29                              // 000000003BA4: D1D3001D 04766330
	v_max3_f32 v29, v50, v51, v29                              // 000000003BAC: D1D3001D 04766732
	v_max3_f32 v29, v52, v53, v29                              // 000000003BB4: D1D3001D 04766B34
	v_max3_f32 v29, v54, v55, v29                              // 000000003BBC: D1D3001D 04766F36
	v_max3_f32 v29, v56, v57, v29                              // 000000003BC4: D1D3001D 04767338
	v_max3_f32 v29, v58, v59, v29                              // 000000003BCC: D1D3001D 0476773A
	v_max3_f32 v29, v60, v61, v29                              // 000000003BD4: D1D3001D 04767B3C
	v_max3_f32 v29, v62, v63, v29                              // 000000003BDC: D1D3001D 04767F3E
	v_mov_b32_e32 v28, v29                                     // 000000003BE4: 7E38031D
	v_mov_b32_e32 v29, v29                                     // 000000003BE8: 7E3A031D
	s_nop 1                                                    // 000000003BEC: BF800001
	v_permlane32_swap_b32_e32 v28, v29                         // 000000003BF0: 7E38B51D
	v_max3_f32 v29, v28, v29, v29                              // 000000003BF4: D1D3001D 04763B1C
	v_mov_b32_e32 v28, 0xff800000                              // 000000003BFC: 7E3802FF FF800000
	v_cmp_eq_u32_e64 s[36:37], v28, v2                         // 000000003C04: D0CA0024 0002051C
	v_max_f32_e32 v29, v29, v2                                 // 000000003C0C: 163A051D
	v_sub_f32_e32 v17, v2, v29                                 // 000000003C10: 04223B02
	v_cndmask_b32_e64 v17, v17, 0, s[36:37]                    // 000000003C14: D1000011 00910111
	v_mov_b32_e32 v2, v29                                      // 000000003C1C: 7E04031D
	v_mul_f32_e32 v29, s5, v29                                 // 000000003C20: 0A3A3A05
	v_mul_f32_e32 v17, s5, v17                                 // 000000003C24: 0A222205
	v_exp_f32_e32 v17, v17                                     // 000000003C28: 7E224111
	v_fma_f32 v32, v32, s5, -v29                               // 000000003C2C: D1CB0020 84740B20
	v_fma_f32 v33, v33, s5, -v29                               // 000000003C34: D1CB0021 84740B21
	v_fma_f32 v34, v34, s5, -v29                               // 000000003C3C: D1CB0022 84740B22
	v_fma_f32 v35, v35, s5, -v29                               // 000000003C44: D1CB0023 84740B23
	v_fma_f32 v36, v36, s5, -v29                               // 000000003C4C: D1CB0024 84740B24
	v_fma_f32 v37, v37, s5, -v29                               // 000000003C54: D1CB0025 84740B25
	v_fma_f32 v38, v38, s5, -v29                               // 000000003C5C: D1CB0026 84740B26
	v_fma_f32 v39, v39, s5, -v29                               // 000000003C64: D1CB0027 84740B27
	v_fma_f32 v40, v40, s5, -v29                               // 000000003C6C: D1CB0028 84740B28
	v_fma_f32 v41, v41, s5, -v29                               // 000000003C74: D1CB0029 84740B29
	v_fma_f32 v42, v42, s5, -v29                               // 000000003C7C: D1CB002A 84740B2A
	v_fma_f32 v43, v43, s5, -v29                               // 000000003C84: D1CB002B 84740B2B
	v_fma_f32 v44, v44, s5, -v29                               // 000000003C8C: D1CB002C 84740B2C
	v_fma_f32 v45, v45, s5, -v29                               // 000000003C94: D1CB002D 84740B2D
	v_fma_f32 v46, v46, s5, -v29                               // 000000003C9C: D1CB002E 84740B2E
	v_fma_f32 v47, v47, s5, -v29                               // 000000003CA4: D1CB002F 84740B2F
	v_fma_f32 v48, v48, s5, -v29                               // 000000003CAC: D1CB0030 84740B30
	v_fma_f32 v49, v49, s5, -v29                               // 000000003CB4: D1CB0031 84740B31
	v_fma_f32 v50, v50, s5, -v29                               // 000000003CBC: D1CB0032 84740B32
	v_fma_f32 v51, v51, s5, -v29                               // 000000003CC4: D1CB0033 84740B33
	v_fma_f32 v52, v52, s5, -v29                               // 000000003CCC: D1CB0034 84740B34
	v_fma_f32 v53, v53, s5, -v29                               // 000000003CD4: D1CB0035 84740B35
	v_fma_f32 v54, v54, s5, -v29                               // 000000003CDC: D1CB0036 84740B36
	v_fma_f32 v55, v55, s5, -v29                               // 000000003CE4: D1CB0037 84740B37
	v_fma_f32 v56, v56, s5, -v29                               // 000000003CEC: D1CB0038 84740B38
	v_fma_f32 v57, v57, s5, -v29                               // 000000003CF4: D1CB0039 84740B39
	v_fma_f32 v58, v58, s5, -v29                               // 000000003CFC: D1CB003A 84740B3A
	v_fma_f32 v59, v59, s5, -v29                               // 000000003D04: D1CB003B 84740B3B
	v_fma_f32 v60, v60, s5, -v29                               // 000000003D0C: D1CB003C 84740B3C
	v_fma_f32 v61, v61, s5, -v29                               // 000000003D14: D1CB003D 84740B3D
	v_fma_f32 v62, v62, s5, -v29                               // 000000003D1C: D1CB003E 84740B3E
	v_fma_f32 v63, v63, s5, -v29                               // 000000003D24: D1CB003F 84740B3F
	v_exp_f32_e32 v32, v32                                     // 000000003D2C: 7E404120
	v_exp_f32_e32 v33, v33                                     // 000000003D30: 7E424121
	v_exp_f32_e32 v34, v34                                     // 000000003D34: 7E444122
	v_exp_f32_e32 v35, v35                                     // 000000003D38: 7E464123
	v_exp_f32_e32 v36, v36                                     // 000000003D3C: 7E484124
	v_exp_f32_e32 v37, v37                                     // 000000003D40: 7E4A4125
	v_exp_f32_e32 v38, v38                                     // 000000003D44: 7E4C4126
	v_exp_f32_e32 v39, v39                                     // 000000003D48: 7E4E4127
	v_exp_f32_e32 v40, v40                                     // 000000003D4C: 7E504128
	v_exp_f32_e32 v41, v41                                     // 000000003D50: 7E524129
	v_exp_f32_e32 v42, v42                                     // 000000003D54: 7E54412A
	v_exp_f32_e32 v43, v43                                     // 000000003D58: 7E56412B
	v_exp_f32_e32 v44, v44                                     // 000000003D5C: 7E58412C
	v_exp_f32_e32 v45, v45                                     // 000000003D60: 7E5A412D
	v_exp_f32_e32 v46, v46                                     // 000000003D64: 7E5C412E
	v_exp_f32_e32 v47, v47                                     // 000000003D68: 7E5E412F
	v_exp_f32_e32 v48, v48                                     // 000000003D6C: 7E604130
	v_exp_f32_e32 v49, v49                                     // 000000003D70: 7E624131
	v_exp_f32_e32 v50, v50                                     // 000000003D74: 7E644132
	v_exp_f32_e32 v51, v51                                     // 000000003D78: 7E664133
	v_exp_f32_e32 v52, v52                                     // 000000003D7C: 7E684134
	v_exp_f32_e32 v53, v53                                     // 000000003D80: 7E6A4135
	v_exp_f32_e32 v54, v54                                     // 000000003D84: 7E6C4136
	v_exp_f32_e32 v55, v55                                     // 000000003D88: 7E6E4137
	v_exp_f32_e32 v56, v56                                     // 000000003D8C: 7E704138
	v_exp_f32_e32 v57, v57                                     // 000000003D90: 7E724139
	v_exp_f32_e32 v58, v58                                     // 000000003D94: 7E74413A
	v_exp_f32_e32 v59, v59                                     // 000000003D98: 7E76413B
	v_exp_f32_e32 v60, v60                                     // 000000003D9C: 7E78413C
	v_exp_f32_e32 v61, v61                                     // 000000003DA0: 7E7A413D
	v_exp_f32_e32 v62, v62                                     // 000000003DA4: 7E7C413E
	v_exp_f32_e32 v63, v63                                     // 000000003DA8: 7E7E413F
	v_mul_f32_e32 v4, v17, v4                                  // 000000003DAC: 0A080911
	v_mov_b32_e32 v28, v32                                     // 000000003DB0: 7E380320
	v_add_f32_e32 v28, v33, v28                                // 000000003DB4: 02383921
	v_add_f32_e32 v28, v34, v28                                // 000000003DB8: 02383922
	v_add_f32_e32 v28, v35, v28                                // 000000003DBC: 02383923
	v_add_f32_e32 v28, v36, v28                                // 000000003DC0: 02383924
	v_add_f32_e32 v28, v37, v28                                // 000000003DC4: 02383925
	v_add_f32_e32 v28, v38, v28                                // 000000003DC8: 02383926
	v_add_f32_e32 v28, v39, v28                                // 000000003DCC: 02383927
	v_add_f32_e32 v28, v40, v28                                // 000000003DD0: 02383928
	v_add_f32_e32 v28, v41, v28                                // 000000003DD4: 02383929
	v_add_f32_e32 v28, v42, v28                                // 000000003DD8: 0238392A
	v_add_f32_e32 v28, v43, v28                                // 000000003DDC: 0238392B
	v_add_f32_e32 v28, v44, v28                                // 000000003DE0: 0238392C
	v_add_f32_e32 v28, v45, v28                                // 000000003DE4: 0238392D
	v_add_f32_e32 v28, v46, v28                                // 000000003DE8: 0238392E
	v_add_f32_e32 v28, v47, v28                                // 000000003DEC: 0238392F
	v_add_f32_e32 v28, v48, v28                                // 000000003DF0: 02383930
	v_add_f32_e32 v28, v49, v28                                // 000000003DF4: 02383931
	v_add_f32_e32 v28, v50, v28                                // 000000003DF8: 02383932
	v_add_f32_e32 v28, v51, v28                                // 000000003DFC: 02383933
	v_add_f32_e32 v28, v52, v28                                // 000000003E00: 02383934
	v_add_f32_e32 v28, v53, v28                                // 000000003E04: 02383935
	v_add_f32_e32 v28, v54, v28                                // 000000003E08: 02383936
	v_add_f32_e32 v28, v55, v28                                // 000000003E0C: 02383937
	v_add_f32_e32 v28, v56, v28                                // 000000003E10: 02383938
	v_add_f32_e32 v28, v57, v28                                // 000000003E14: 02383939
	v_add_f32_e32 v28, v58, v28                                // 000000003E18: 0238393A
	v_add_f32_e32 v28, v59, v28                                // 000000003E1C: 0238393B
	v_add_f32_e32 v28, v60, v28                                // 000000003E20: 0238393C
	v_add_f32_e32 v28, v61, v28                                // 000000003E24: 0238393D
	v_add_f32_e32 v28, v62, v28                                // 000000003E28: 0238393E
	v_add_f32_e32 v28, v63, v28                                // 000000003E2C: 0238393F
	v_add_f32_e32 v4, v28, v4                                  // 000000003E30: 0208091C
	v_cvt_pk_fp8_f32 v32, v32, v33                             // 000000003E34: D2A20020 00024320
	v_cvt_pk_fp8_f32 v32, v34, v35 op_sel:[0,0,1]              // 000000003E3C: D2A24020 00024722
	v_cvt_pk_fp8_f32 v33, v36, v37                             // 000000003E44: D2A20021 00024B24
	v_cvt_pk_fp8_f32 v33, v38, v39 op_sel:[0,0,1]              // 000000003E4C: D2A24021 00024F26
	v_cvt_pk_fp8_f32 v34, v40, v41                             // 000000003E54: D2A20022 00025328
	v_cvt_pk_fp8_f32 v34, v42, v43 op_sel:[0,0,1]              // 000000003E5C: D2A24022 0002572A
	v_cvt_pk_fp8_f32 v35, v44, v45                             // 000000003E64: D2A20023 00025B2C
	v_cvt_pk_fp8_f32 v35, v46, v47 op_sel:[0,0,1]              // 000000003E6C: D2A24023 00025F2E
	v_cvt_pk_fp8_f32 v36, v48, v49                             // 000000003E74: D2A20024 00026330
	v_cvt_pk_fp8_f32 v36, v50, v51 op_sel:[0,0,1]              // 000000003E7C: D2A24024 00026732
	v_cvt_pk_fp8_f32 v37, v52, v53                             // 000000003E84: D2A20025 00026B34
	v_cvt_pk_fp8_f32 v37, v54, v55 op_sel:[0,0,1]              // 000000003E8C: D2A24025 00026F36
	v_cvt_pk_fp8_f32 v38, v56, v57                             // 000000003E94: D2A20026 00027338
	v_cvt_pk_fp8_f32 v38, v58, v59 op_sel:[0,0,1]              // 000000003E9C: D2A24026 0002773A
	v_cvt_pk_fp8_f32 v39, v60, v61                             // 000000003EA4: D2A20027 00027B3C
	v_cvt_pk_fp8_f32 v39, v62, v63 op_sel:[0,0,1]              // 000000003EAC: D2A24027 00027F3E
	v_permlane32_swap_b32_e32 v32, v34                         // 000000003EB4: 7E40B522
	v_permlane32_swap_b32_e32 v33, v35                         // 000000003EB8: 7E42B523
	v_swap_b32 v33, v34                                        // 000000003EBC: 7E42A322
	v_permlane32_swap_b32_e32 v36, v38                         // 000000003EC0: 7E48B526
	v_permlane32_swap_b32_e32 v37, v39                         // 000000003EC4: 7E4AB527
	v_swap_b32 v37, v38                                        // 000000003EC8: 7E4AA326
	v_mov_b32_e32 v28, v17                                     // 000000003ECC: 7E380311
	v_mul_f32_e32 v64, v28, v64                                // 000000003ED0: 0A80811C
	v_mul_f32_e32 v65, v28, v65                                // 000000003ED4: 0A82831C
	v_mul_f32_e32 v66, v28, v66                                // 000000003ED8: 0A84851C
	v_mul_f32_e32 v67, v28, v67                                // 000000003EDC: 0A86871C
	v_mul_f32_e32 v68, v28, v68                                // 000000003EE0: 0A88891C
	v_mul_f32_e32 v69, v28, v69                                // 000000003EE4: 0A8A8B1C
	v_mul_f32_e32 v70, v28, v70                                // 000000003EE8: 0A8C8D1C
	v_mul_f32_e32 v71, v28, v71                                // 000000003EEC: 0A8E8F1C
	v_mul_f32_e32 v72, v28, v72                                // 000000003EF0: 0A90911C
	v_mul_f32_e32 v73, v28, v73                                // 000000003EF4: 0A92931C
	v_mul_f32_e32 v74, v28, v74                                // 000000003EF8: 0A94951C
	v_mul_f32_e32 v75, v28, v75                                // 000000003EFC: 0A96971C
	v_mul_f32_e32 v76, v28, v76                                // 000000003F00: 0A98991C
	v_mul_f32_e32 v77, v28, v77                                // 000000003F04: 0A9A9B1C
	v_mul_f32_e32 v78, v28, v78                                // 000000003F08: 0A9C9D1C
	v_mul_f32_e32 v79, v28, v79                                // 000000003F0C: 0A9E9F1C
	v_mul_f32_e32 v80, v28, v80                                // 000000003F10: 0AA0A11C
	v_mul_f32_e32 v81, v28, v81                                // 000000003F14: 0AA2A31C
	v_mul_f32_e32 v82, v28, v82                                // 000000003F18: 0AA4A51C
	v_mul_f32_e32 v83, v28, v83                                // 000000003F1C: 0AA6A71C
	v_mul_f32_e32 v84, v28, v84                                // 000000003F20: 0AA8A91C
	v_mul_f32_e32 v85, v28, v85                                // 000000003F24: 0AAAAB1C
	v_mul_f32_e32 v86, v28, v86                                // 000000003F28: 0AACAD1C
	v_mul_f32_e32 v87, v28, v87                                // 000000003F2C: 0AAEAF1C
	v_mul_f32_e32 v88, v28, v88                                // 000000003F30: 0AB0B11C
	v_mul_f32_e32 v89, v28, v89                                // 000000003F34: 0AB2B31C
	v_mul_f32_e32 v90, v28, v90                                // 000000003F38: 0AB4B51C
	v_mul_f32_e32 v91, v28, v91                                // 000000003F3C: 0AB6B71C
	v_mul_f32_e32 v92, v28, v92                                // 000000003F40: 0AB8B91C
	v_mul_f32_e32 v93, v28, v93                                // 000000003F44: 0ABABB1C
	v_mul_f32_e32 v94, v28, v94                                // 000000003F48: 0ABCBD1C
	v_mul_f32_e32 v95, v28, v95                                // 000000003F4C: 0ABEBF1C
	v_mul_f32_e32 v96, v28, v96                                // 000000003F50: 0AC0C11C
	v_mul_f32_e32 v97, v28, v97                                // 000000003F54: 0AC2C31C
	v_mul_f32_e32 v98, v28, v98                                // 000000003F58: 0AC4C51C
	v_mul_f32_e32 v99, v28, v99                                // 000000003F5C: 0AC6C71C
	v_mul_f32_e32 v100, v28, v100                              // 000000003F60: 0AC8C91C
	v_mul_f32_e32 v101, v28, v101                              // 000000003F64: 0ACACB1C
	v_mul_f32_e32 v102, v28, v102                              // 000000003F68: 0ACCCD1C
	v_mul_f32_e32 v103, v28, v103                              // 000000003F6C: 0ACECF1C
	v_mul_f32_e32 v104, v28, v104                              // 000000003F70: 0AD0D11C
	v_mul_f32_e32 v105, v28, v105                              // 000000003F74: 0AD2D31C
	v_mul_f32_e32 v106, v28, v106                              // 000000003F78: 0AD4D51C
	v_mul_f32_e32 v107, v28, v107                              // 000000003F7C: 0AD6D71C
	v_mul_f32_e32 v108, v28, v108                              // 000000003F80: 0AD8D91C
	v_mul_f32_e32 v109, v28, v109                              // 000000003F84: 0ADADB1C
	v_mul_f32_e32 v110, v28, v110                              // 000000003F88: 0ADCDD1C
	v_mul_f32_e32 v111, v28, v111                              // 000000003F8C: 0ADEDF1C
	v_mul_f32_e32 v112, v28, v112                              // 000000003F90: 0AE0E11C
	v_mul_f32_e32 v113, v28, v113                              // 000000003F94: 0AE2E31C
	v_mul_f32_e32 v114, v28, v114                              // 000000003F98: 0AE4E51C
	v_mul_f32_e32 v115, v28, v115                              // 000000003F9C: 0AE6E71C
	v_mul_f32_e32 v116, v28, v116                              // 000000003FA0: 0AE8E91C
	v_mul_f32_e32 v117, v28, v117                              // 000000003FA4: 0AEAEB1C
	v_mul_f32_e32 v118, v28, v118                              // 000000003FA8: 0AECED1C
	v_mul_f32_e32 v119, v28, v119                              // 000000003FAC: 0AEEEF1C
	v_mul_f32_e32 v120, v28, v120                              // 000000003FB0: 0AF0F11C
	v_mul_f32_e32 v121, v28, v121                              // 000000003FB4: 0AF2F31C
	v_mul_f32_e32 v122, v28, v122                              // 000000003FB8: 0AF4F51C
	v_mul_f32_e32 v123, v28, v123                              // 000000003FBC: 0AF6F71C
	v_mul_f32_e32 v124, v28, v124                              // 000000003FC0: 0AF8F91C
	v_mul_f32_e32 v125, v28, v125                              // 000000003FC4: 0AFAFB1C
	v_mul_f32_e32 v126, v28, v126                              // 000000003FC8: 0AFCFD1C
	v_mul_f32_e32 v127, v28, v127                              // 000000003FCC: 0AFEFF1C
	v_mul_f32_e32 v128, v28, v128                              // 000000003FD0: 0B01011C
	v_mul_f32_e32 v129, v28, v129                              // 000000003FD4: 0B03031C
	v_mul_f32_e32 v130, v28, v130                              // 000000003FD8: 0B05051C
	v_mul_f32_e32 v131, v28, v131                              // 000000003FDC: 0B07071C
	v_mul_f32_e32 v132, v28, v132                              // 000000003FE0: 0B09091C
	v_mul_f32_e32 v133, v28, v133                              // 000000003FE4: 0B0B0B1C
	v_mul_f32_e32 v134, v28, v134                              // 000000003FE8: 0B0D0D1C
	v_mul_f32_e32 v135, v28, v135                              // 000000003FEC: 0B0F0F1C
	v_mul_f32_e32 v136, v28, v136                              // 000000003FF0: 0B11111C
	v_mul_f32_e32 v137, v28, v137                              // 000000003FF4: 0B13131C
	v_mul_f32_e32 v138, v28, v138                              // 000000003FF8: 0B15151C
	v_mul_f32_e32 v139, v28, v139                              // 000000003FFC: 0B17171C
	v_mul_f32_e32 v140, v28, v140                              // 000000004000: 0B19191C
	v_mul_f32_e32 v141, v28, v141                              // 000000004004: 0B1B1B1C
	v_mul_f32_e32 v142, v28, v142                              // 000000004008: 0B1D1D1C
	v_mul_f32_e32 v143, v28, v143                              // 00000000400C: 0B1F1F1C
	v_mul_f32_e32 v144, v28, v144                              // 000000004010: 0B21211C
	v_mul_f32_e32 v145, v28, v145                              // 000000004014: 0B23231C
	v_mul_f32_e32 v146, v28, v146                              // 000000004018: 0B25251C
	v_mul_f32_e32 v147, v28, v147                              // 00000000401C: 0B27271C
	v_mul_f32_e32 v148, v28, v148                              // 000000004020: 0B29291C
	v_mul_f32_e32 v149, v28, v149                              // 000000004024: 0B2B2B1C
	v_mul_f32_e32 v150, v28, v150                              // 000000004028: 0B2D2D1C
	v_mul_f32_e32 v151, v28, v151                              // 00000000402C: 0B2F2F1C
	v_mul_f32_e32 v152, v28, v152                              // 000000004030: 0B31311C
	v_mul_f32_e32 v153, v28, v153                              // 000000004034: 0B33331C
	v_mul_f32_e32 v154, v28, v154                              // 000000004038: 0B35351C
	v_mul_f32_e32 v155, v28, v155                              // 00000000403C: 0B37371C
	v_mul_f32_e32 v156, v28, v156                              // 000000004040: 0B39391C
	v_mul_f32_e32 v157, v28, v157                              // 000000004044: 0B3B3B1C
	v_mul_f32_e32 v158, v28, v158                              // 000000004048: 0B3D3D1C
	v_mul_f32_e32 v159, v28, v159                              // 00000000404C: 0B3F3F1C
	v_mul_f32_e32 v160, v28, v160                              // 000000004050: 0B41411C
	v_mul_f32_e32 v161, v28, v161                              // 000000004054: 0B43431C
	v_mul_f32_e32 v162, v28, v162                              // 000000004058: 0B45451C
	v_mul_f32_e32 v163, v28, v163                              // 00000000405C: 0B47471C
	v_mul_f32_e32 v164, v28, v164                              // 000000004060: 0B49491C
	v_mul_f32_e32 v165, v28, v165                              // 000000004064: 0B4B4B1C
	v_mul_f32_e32 v166, v28, v166                              // 000000004068: 0B4D4D1C
	v_mul_f32_e32 v167, v28, v167                              // 00000000406C: 0B4F4F1C
	v_mul_f32_e32 v168, v28, v168                              // 000000004070: 0B51511C
	v_mul_f32_e32 v169, v28, v169                              // 000000004074: 0B53531C
	v_mul_f32_e32 v170, v28, v170                              // 000000004078: 0B55551C
	v_mul_f32_e32 v171, v28, v171                              // 00000000407C: 0B57571C
	v_mul_f32_e32 v172, v28, v172                              // 000000004080: 0B59591C
	v_mul_f32_e32 v173, v28, v173                              // 000000004084: 0B5B5B1C
	v_mul_f32_e32 v174, v28, v174                              // 000000004088: 0B5D5D1C
	v_mul_f32_e32 v175, v28, v175                              // 00000000408C: 0B5F5F1C
	v_mul_f32_e32 v176, v28, v176                              // 000000004090: 0B61611C
	v_mul_f32_e32 v177, v28, v177                              // 000000004094: 0B63631C
	v_mul_f32_e32 v178, v28, v178                              // 000000004098: 0B65651C
	v_mul_f32_e32 v179, v28, v179                              // 00000000409C: 0B67671C
	v_mul_f32_e32 v180, v28, v180                              // 0000000040A0: 0B69691C
	v_mul_f32_e32 v181, v28, v181                              // 0000000040A4: 0B6B6B1C
	v_mul_f32_e32 v182, v28, v182                              // 0000000040A8: 0B6D6D1C
	v_mul_f32_e32 v183, v28, v183                              // 0000000040AC: 0B6F6F1C
	v_mul_f32_e32 v184, v28, v184                              // 0000000040B0: 0B71711C
	v_mul_f32_e32 v185, v28, v185                              // 0000000040B4: 0B73731C
	v_mul_f32_e32 v186, v28, v186                              // 0000000040B8: 0B75751C
	v_mul_f32_e32 v187, v28, v187                              // 0000000040BC: 0B77771C
	v_mul_f32_e32 v188, v28, v188                              // 0000000040C0: 0B79791C
	v_mul_f32_e32 v189, v28, v189                              // 0000000040C4: 0B7B7B1C
	v_mul_f32_e32 v190, v28, v190                              // 0000000040C8: 0B7D7D1C
	v_mul_f32_e32 v191, v28, v191                              // 0000000040CC: 0B7F7F1C
	v_mul_f32_e32 v192, v28, v192                              // 0000000040D0: 0B81811C
	v_mul_f32_e32 v193, v28, v193                              // 0000000040D4: 0B83831C
	v_mul_f32_e32 v194, v28, v194                              // 0000000040D8: 0B85851C
	v_mul_f32_e32 v195, v28, v195                              // 0000000040DC: 0B87871C
	v_mul_f32_e32 v196, v28, v196                              // 0000000040E0: 0B89891C
	v_mul_f32_e32 v197, v28, v197                              // 0000000040E4: 0B8B8B1C
	v_mul_f32_e32 v198, v28, v198                              // 0000000040E8: 0B8D8D1C
	v_mul_f32_e32 v199, v28, v199                              // 0000000040EC: 0B8F8F1C
	v_mul_f32_e32 v200, v28, v200                              // 0000000040F0: 0B91911C
	v_mul_f32_e32 v201, v28, v201                              // 0000000040F4: 0B93931C
	v_mul_f32_e32 v202, v28, v202                              // 0000000040F8: 0B95951C
	v_mul_f32_e32 v203, v28, v203                              // 0000000040FC: 0B97971C
	v_mul_f32_e32 v204, v28, v204                              // 000000004100: 0B99991C
	v_mul_f32_e32 v205, v28, v205                              // 000000004104: 0B9B9B1C
	v_mul_f32_e32 v206, v28, v206                              // 000000004108: 0B9D9D1C
	v_mul_f32_e32 v207, v28, v207                              // 00000000410C: 0B9F9F1C
	v_mul_f32_e32 v208, v28, v208                              // 000000004110: 0BA1A11C
	v_mul_f32_e32 v209, v28, v209                              // 000000004114: 0BA3A31C
	v_mul_f32_e32 v210, v28, v210                              // 000000004118: 0BA5A51C
	v_mul_f32_e32 v211, v28, v211                              // 00000000411C: 0BA7A71C
	v_mul_f32_e32 v212, v28, v212                              // 000000004120: 0BA9A91C
	v_mul_f32_e32 v213, v28, v213                              // 000000004124: 0BABAB1C
	v_mul_f32_e32 v214, v28, v214                              // 000000004128: 0BADAD1C
	v_mul_f32_e32 v215, v28, v215                              // 00000000412C: 0BAFAF1C
	v_mul_f32_e32 v216, v28, v216                              // 000000004130: 0BB1B11C
	v_mul_f32_e32 v217, v28, v217                              // 000000004134: 0BB3B31C
	v_mul_f32_e32 v218, v28, v218                              // 000000004138: 0BB5B51C
	v_mul_f32_e32 v219, v28, v219                              // 00000000413C: 0BB7B71C
	v_mul_f32_e32 v220, v28, v220                              // 000000004140: 0BB9B91C
	v_mul_f32_e32 v221, v28, v221                              // 000000004144: 0BBBBB1C
	v_mul_f32_e32 v222, v28, v222                              // 000000004148: 0BBDBD1C
	v_mul_f32_e32 v223, v28, v223                              // 00000000414C: 0BBFBF1C
	v_accvgpr_read_b32 v29, a144                               // 000000004150: D3D8401D 18000190
	v_mul_f32_e32 v29, v28, v29                                // 000000004158: 0A3A3B1C
	v_accvgpr_write_b32 a144, v29                              // 00000000415C: D3D94090 1800011D
	v_accvgpr_read_b32 v29, a145                               // 000000004164: D3D8401D 18000191
	v_mul_f32_e32 v29, v28, v29                                // 00000000416C: 0A3A3B1C
	v_accvgpr_write_b32 a145, v29                              // 000000004170: D3D94091 1800011D
	v_accvgpr_read_b32 v29, a146                               // 000000004178: D3D8401D 18000192
	v_mul_f32_e32 v29, v28, v29                                // 000000004180: 0A3A3B1C
	v_accvgpr_write_b32 a146, v29                              // 000000004184: D3D94092 1800011D
	v_accvgpr_read_b32 v29, a147                               // 00000000418C: D3D8401D 18000193
	v_mul_f32_e32 v29, v28, v29                                // 000000004194: 0A3A3B1C
	v_accvgpr_write_b32 a147, v29                              // 000000004198: D3D94093 1800011D
	v_accvgpr_read_b32 v29, a148                               // 0000000041A0: D3D8401D 18000194
	v_mul_f32_e32 v29, v28, v29                                // 0000000041A8: 0A3A3B1C
	v_accvgpr_write_b32 a148, v29                              // 0000000041AC: D3D94094 1800011D
	v_accvgpr_read_b32 v29, a149                               // 0000000041B4: D3D8401D 18000195
	v_mul_f32_e32 v29, v28, v29                                // 0000000041BC: 0A3A3B1C
	v_accvgpr_write_b32 a149, v29                              // 0000000041C0: D3D94095 1800011D
	v_accvgpr_read_b32 v29, a150                               // 0000000041C8: D3D8401D 18000196
	v_mul_f32_e32 v29, v28, v29                                // 0000000041D0: 0A3A3B1C
	v_accvgpr_write_b32 a150, v29                              // 0000000041D4: D3D94096 1800011D
	v_accvgpr_read_b32 v29, a151                               // 0000000041DC: D3D8401D 18000197
	v_mul_f32_e32 v29, v28, v29                                // 0000000041E4: 0A3A3B1C
	v_accvgpr_write_b32 a151, v29                              // 0000000041E8: D3D94097 1800011D
	v_accvgpr_read_b32 v29, a152                               // 0000000041F0: D3D8401D 18000198
	v_mul_f32_e32 v29, v28, v29                                // 0000000041F8: 0A3A3B1C
	v_accvgpr_write_b32 a152, v29                              // 0000000041FC: D3D94098 1800011D
	v_accvgpr_read_b32 v29, a153                               // 000000004204: D3D8401D 18000199
	v_mul_f32_e32 v29, v28, v29                                // 00000000420C: 0A3A3B1C
	v_accvgpr_write_b32 a153, v29                              // 000000004210: D3D94099 1800011D
	v_accvgpr_read_b32 v29, a154                               // 000000004218: D3D8401D 1800019A
	v_mul_f32_e32 v29, v28, v29                                // 000000004220: 0A3A3B1C
	v_accvgpr_write_b32 a154, v29                              // 000000004224: D3D9409A 1800011D
	v_accvgpr_read_b32 v29, a155                               // 00000000422C: D3D8401D 1800019B
	v_mul_f32_e32 v29, v28, v29                                // 000000004234: 0A3A3B1C
	v_accvgpr_write_b32 a155, v29                              // 000000004238: D3D9409B 1800011D
	v_accvgpr_read_b32 v29, a156                               // 000000004240: D3D8401D 1800019C
	v_mul_f32_e32 v29, v28, v29                                // 000000004248: 0A3A3B1C
	v_accvgpr_write_b32 a156, v29                              // 00000000424C: D3D9409C 1800011D
	v_accvgpr_read_b32 v29, a157                               // 000000004254: D3D8401D 1800019D
	v_mul_f32_e32 v29, v28, v29                                // 00000000425C: 0A3A3B1C
	v_accvgpr_write_b32 a157, v29                              // 000000004260: D3D9409D 1800011D
	v_accvgpr_read_b32 v29, a158                               // 000000004268: D3D8401D 1800019E
	v_mul_f32_e32 v29, v28, v29                                // 000000004270: 0A3A3B1C
	v_accvgpr_write_b32 a158, v29                              // 000000004274: D3D9409E 1800011D
	v_accvgpr_read_b32 v29, a159                               // 00000000427C: D3D8401D 1800019F
	v_mul_f32_e32 v29, v28, v29                                // 000000004284: 0A3A3B1C
	v_accvgpr_write_b32 a159, v29                              // 000000004288: D3D9409F 1800011D
	v_accvgpr_read_b32 v29, a160                               // 000000004290: D3D8401D 180001A0
	v_mul_f32_e32 v29, v28, v29                                // 000000004298: 0A3A3B1C
	v_accvgpr_write_b32 a160, v29                              // 00000000429C: D3D940A0 1800011D
	v_accvgpr_read_b32 v29, a161                               // 0000000042A4: D3D8401D 180001A1
	v_mul_f32_e32 v29, v28, v29                                // 0000000042AC: 0A3A3B1C
	v_accvgpr_write_b32 a161, v29                              // 0000000042B0: D3D940A1 1800011D
	v_accvgpr_read_b32 v29, a162                               // 0000000042B8: D3D8401D 180001A2
	v_mul_f32_e32 v29, v28, v29                                // 0000000042C0: 0A3A3B1C
	v_accvgpr_write_b32 a162, v29                              // 0000000042C4: D3D940A2 1800011D
	v_accvgpr_read_b32 v29, a163                               // 0000000042CC: D3D8401D 180001A3
	v_mul_f32_e32 v29, v28, v29                                // 0000000042D4: 0A3A3B1C
	v_accvgpr_write_b32 a163, v29                              // 0000000042D8: D3D940A3 1800011D
	v_accvgpr_read_b32 v29, a164                               // 0000000042E0: D3D8401D 180001A4
	v_mul_f32_e32 v29, v28, v29                                // 0000000042E8: 0A3A3B1C
	v_accvgpr_write_b32 a164, v29                              // 0000000042EC: D3D940A4 1800011D
	v_accvgpr_read_b32 v29, a165                               // 0000000042F4: D3D8401D 180001A5
	v_mul_f32_e32 v29, v28, v29                                // 0000000042FC: 0A3A3B1C
	v_accvgpr_write_b32 a165, v29                              // 000000004300: D3D940A5 1800011D
	v_accvgpr_read_b32 v29, a166                               // 000000004308: D3D8401D 180001A6
	v_mul_f32_e32 v29, v28, v29                                // 000000004310: 0A3A3B1C
	v_accvgpr_write_b32 a166, v29                              // 000000004314: D3D940A6 1800011D
	v_accvgpr_read_b32 v29, a167                               // 00000000431C: D3D8401D 180001A7
	v_mul_f32_e32 v29, v28, v29                                // 000000004324: 0A3A3B1C
	v_accvgpr_write_b32 a167, v29                              // 000000004328: D3D940A7 1800011D
	v_accvgpr_read_b32 v29, a168                               // 000000004330: D3D8401D 180001A8
	v_mul_f32_e32 v29, v28, v29                                // 000000004338: 0A3A3B1C
	v_accvgpr_write_b32 a168, v29                              // 00000000433C: D3D940A8 1800011D
	v_accvgpr_read_b32 v29, a169                               // 000000004344: D3D8401D 180001A9
	v_mul_f32_e32 v29, v28, v29                                // 00000000434C: 0A3A3B1C
	v_accvgpr_write_b32 a169, v29                              // 000000004350: D3D940A9 1800011D
	v_accvgpr_read_b32 v29, a170                               // 000000004358: D3D8401D 180001AA
	v_mul_f32_e32 v29, v28, v29                                // 000000004360: 0A3A3B1C
	v_accvgpr_write_b32 a170, v29                              // 000000004364: D3D940AA 1800011D
	v_accvgpr_read_b32 v29, a171                               // 00000000436C: D3D8401D 180001AB
	v_mul_f32_e32 v29, v28, v29                                // 000000004374: 0A3A3B1C
	v_accvgpr_write_b32 a171, v29                              // 000000004378: D3D940AB 1800011D
	v_accvgpr_read_b32 v29, a172                               // 000000004380: D3D8401D 180001AC
	v_mul_f32_e32 v29, v28, v29                                // 000000004388: 0A3A3B1C
	v_accvgpr_write_b32 a172, v29                              // 00000000438C: D3D940AC 1800011D
	v_accvgpr_read_b32 v29, a173                               // 000000004394: D3D8401D 180001AD
	v_mul_f32_e32 v29, v28, v29                                // 00000000439C: 0A3A3B1C
	v_accvgpr_write_b32 a173, v29                              // 0000000043A0: D3D940AD 1800011D
	v_accvgpr_read_b32 v29, a174                               // 0000000043A8: D3D8401D 180001AE
	v_mul_f32_e32 v29, v28, v29                                // 0000000043B0: 0A3A3B1C
	v_accvgpr_write_b32 a174, v29                              // 0000000043B4: D3D940AE 1800011D
	v_accvgpr_read_b32 v29, a175                               // 0000000043BC: D3D8401D 180001AF
	v_mul_f32_e32 v29, v28, v29                                // 0000000043C4: 0A3A3B1C
	v_accvgpr_write_b32 a175, v29                              // 0000000043C8: D3D940AF 1800011D
	v_accvgpr_read_b32 v29, a176                               // 0000000043D0: D3D8401D 180001B0
	v_mul_f32_e32 v29, v28, v29                                // 0000000043D8: 0A3A3B1C
	v_accvgpr_write_b32 a176, v29                              // 0000000043DC: D3D940B0 1800011D
	v_accvgpr_read_b32 v29, a177                               // 0000000043E4: D3D8401D 180001B1
	v_mul_f32_e32 v29, v28, v29                                // 0000000043EC: 0A3A3B1C
	v_accvgpr_write_b32 a177, v29                              // 0000000043F0: D3D940B1 1800011D
	v_accvgpr_read_b32 v29, a178                               // 0000000043F8: D3D8401D 180001B2
	v_mul_f32_e32 v29, v28, v29                                // 000000004400: 0A3A3B1C
	v_accvgpr_write_b32 a178, v29                              // 000000004404: D3D940B2 1800011D
	v_accvgpr_read_b32 v29, a179                               // 00000000440C: D3D8401D 180001B3
	v_mul_f32_e32 v29, v28, v29                                // 000000004414: 0A3A3B1C
	v_accvgpr_write_b32 a179, v29                              // 000000004418: D3D940B3 1800011D
	v_accvgpr_read_b32 v29, a180                               // 000000004420: D3D8401D 180001B4
	v_mul_f32_e32 v29, v28, v29                                // 000000004428: 0A3A3B1C
	v_accvgpr_write_b32 a180, v29                              // 00000000442C: D3D940B4 1800011D
	v_accvgpr_read_b32 v29, a181                               // 000000004434: D3D8401D 180001B5
	v_mul_f32_e32 v29, v28, v29                                // 00000000443C: 0A3A3B1C
	v_accvgpr_write_b32 a181, v29                              // 000000004440: D3D940B5 1800011D
	v_accvgpr_read_b32 v29, a182                               // 000000004448: D3D8401D 180001B6
	v_mul_f32_e32 v29, v28, v29                                // 000000004450: 0A3A3B1C
	v_accvgpr_write_b32 a182, v29                              // 000000004454: D3D940B6 1800011D
	v_accvgpr_read_b32 v29, a183                               // 00000000445C: D3D8401D 180001B7
	v_mul_f32_e32 v29, v28, v29                                // 000000004464: 0A3A3B1C
	v_accvgpr_write_b32 a183, v29                              // 000000004468: D3D940B7 1800011D
	v_accvgpr_read_b32 v29, a184                               // 000000004470: D3D8401D 180001B8
	v_mul_f32_e32 v29, v28, v29                                // 000000004478: 0A3A3B1C
	v_accvgpr_write_b32 a184, v29                              // 00000000447C: D3D940B8 1800011D
	v_accvgpr_read_b32 v29, a185                               // 000000004484: D3D8401D 180001B9
	v_mul_f32_e32 v29, v28, v29                                // 00000000448C: 0A3A3B1C
	v_accvgpr_write_b32 a185, v29                              // 000000004490: D3D940B9 1800011D
	v_accvgpr_read_b32 v29, a186                               // 000000004498: D3D8401D 180001BA
	v_mul_f32_e32 v29, v28, v29                                // 0000000044A0: 0A3A3B1C
	v_accvgpr_write_b32 a186, v29                              // 0000000044A4: D3D940BA 1800011D
	v_accvgpr_read_b32 v29, a187                               // 0000000044AC: D3D8401D 180001BB
	v_mul_f32_e32 v29, v28, v29                                // 0000000044B4: 0A3A3B1C
	v_accvgpr_write_b32 a187, v29                              // 0000000044B8: D3D940BB 1800011D
	v_accvgpr_read_b32 v29, a188                               // 0000000044C0: D3D8401D 180001BC
	v_mul_f32_e32 v29, v28, v29                                // 0000000044C8: 0A3A3B1C
	v_accvgpr_write_b32 a188, v29                              // 0000000044CC: D3D940BC 1800011D
	v_accvgpr_read_b32 v29, a189                               // 0000000044D4: D3D8401D 180001BD
	v_mul_f32_e32 v29, v28, v29                                // 0000000044DC: 0A3A3B1C
	v_accvgpr_write_b32 a189, v29                              // 0000000044E0: D3D940BD 1800011D
	v_accvgpr_read_b32 v29, a190                               // 0000000044E8: D3D8401D 180001BE
	v_mul_f32_e32 v29, v28, v29                                // 0000000044F0: 0A3A3B1C
	v_accvgpr_write_b32 a190, v29                              // 0000000044F4: D3D940BE 1800011D
	v_accvgpr_read_b32 v29, a191                               // 0000000044FC: D3D8401D 180001BF
	v_mul_f32_e32 v29, v28, v29                                // 000000004504: 0A3A3B1C
	v_accvgpr_write_b32 a191, v29                              // 000000004508: D3D940BF 1800011D
	v_accvgpr_read_b32 v29, a192                               // 000000004510: D3D8401D 180001C0
	v_mul_f32_e32 v29, v28, v29                                // 000000004518: 0A3A3B1C
	v_accvgpr_write_b32 a192, v29                              // 00000000451C: D3D940C0 1800011D
	v_accvgpr_read_b32 v29, a193                               // 000000004524: D3D8401D 180001C1
	v_mul_f32_e32 v29, v28, v29                                // 00000000452C: 0A3A3B1C
	v_accvgpr_write_b32 a193, v29                              // 000000004530: D3D940C1 1800011D
	v_accvgpr_read_b32 v29, a194                               // 000000004538: D3D8401D 180001C2
	v_mul_f32_e32 v29, v28, v29                                // 000000004540: 0A3A3B1C
	v_accvgpr_write_b32 a194, v29                              // 000000004544: D3D940C2 1800011D
	v_accvgpr_read_b32 v29, a195                               // 00000000454C: D3D8401D 180001C3
	v_mul_f32_e32 v29, v28, v29                                // 000000004554: 0A3A3B1C
	v_accvgpr_write_b32 a195, v29                              // 000000004558: D3D940C3 1800011D
	v_accvgpr_read_b32 v29, a196                               // 000000004560: D3D8401D 180001C4
	v_mul_f32_e32 v29, v28, v29                                // 000000004568: 0A3A3B1C
	v_accvgpr_write_b32 a196, v29                              // 00000000456C: D3D940C4 1800011D
	v_accvgpr_read_b32 v29, a197                               // 000000004574: D3D8401D 180001C5
	v_mul_f32_e32 v29, v28, v29                                // 00000000457C: 0A3A3B1C
	v_accvgpr_write_b32 a197, v29                              // 000000004580: D3D940C5 1800011D
	v_accvgpr_read_b32 v29, a198                               // 000000004588: D3D8401D 180001C6
	v_mul_f32_e32 v29, v28, v29                                // 000000004590: 0A3A3B1C
	v_accvgpr_write_b32 a198, v29                              // 000000004594: D3D940C6 1800011D
	v_accvgpr_read_b32 v29, a199                               // 00000000459C: D3D8401D 180001C7
	v_mul_f32_e32 v29, v28, v29                                // 0000000045A4: 0A3A3B1C
	v_accvgpr_write_b32 a199, v29                              // 0000000045A8: D3D940C7 1800011D
	v_accvgpr_read_b32 v29, a200                               // 0000000045B0: D3D8401D 180001C8
	v_mul_f32_e32 v29, v28, v29                                // 0000000045B8: 0A3A3B1C
	v_accvgpr_write_b32 a200, v29                              // 0000000045BC: D3D940C8 1800011D
	v_accvgpr_read_b32 v29, a201                               // 0000000045C4: D3D8401D 180001C9
	v_mul_f32_e32 v29, v28, v29                                // 0000000045CC: 0A3A3B1C
	v_accvgpr_write_b32 a201, v29                              // 0000000045D0: D3D940C9 1800011D
	v_accvgpr_read_b32 v29, a202                               // 0000000045D8: D3D8401D 180001CA
	v_mul_f32_e32 v29, v28, v29                                // 0000000045E0: 0A3A3B1C
	v_accvgpr_write_b32 a202, v29                              // 0000000045E4: D3D940CA 1800011D
	v_accvgpr_read_b32 v29, a203                               // 0000000045EC: D3D8401D 180001CB
	v_mul_f32_e32 v29, v28, v29                                // 0000000045F4: 0A3A3B1C
	v_accvgpr_write_b32 a203, v29                              // 0000000045F8: D3D940CB 1800011D
	v_accvgpr_read_b32 v29, a204                               // 000000004600: D3D8401D 180001CC
	v_mul_f32_e32 v29, v28, v29                                // 000000004608: 0A3A3B1C
	v_accvgpr_write_b32 a204, v29                              // 00000000460C: D3D940CC 1800011D
	v_accvgpr_read_b32 v29, a205                               // 000000004614: D3D8401D 180001CD
	v_mul_f32_e32 v29, v28, v29                                // 00000000461C: 0A3A3B1C
	v_accvgpr_write_b32 a205, v29                              // 000000004620: D3D940CD 1800011D
	v_accvgpr_read_b32 v29, a206                               // 000000004628: D3D8401D 180001CE
	v_mul_f32_e32 v29, v28, v29                                // 000000004630: 0A3A3B1C
	v_accvgpr_write_b32 a206, v29                              // 000000004634: D3D940CE 1800011D
	v_accvgpr_read_b32 v29, a207                               // 00000000463C: D3D8401D 180001CF
	v_mul_f32_e32 v29, v28, v29                                // 000000004644: 0A3A3B1C
	v_accvgpr_write_b32 a207, v29                              // 000000004648: D3D940CF 1800011D
	v_accvgpr_read_b32 v29, a208                               // 000000004650: D3D8401D 180001D0
	v_mul_f32_e32 v29, v28, v29                                // 000000004658: 0A3A3B1C
	v_accvgpr_write_b32 a208, v29                              // 00000000465C: D3D940D0 1800011D
	v_accvgpr_read_b32 v29, a209                               // 000000004664: D3D8401D 180001D1
	v_mul_f32_e32 v29, v28, v29                                // 00000000466C: 0A3A3B1C
	v_accvgpr_write_b32 a209, v29                              // 000000004670: D3D940D1 1800011D
	v_accvgpr_read_b32 v29, a210                               // 000000004678: D3D8401D 180001D2
	v_mul_f32_e32 v29, v28, v29                                // 000000004680: 0A3A3B1C
	v_accvgpr_write_b32 a210, v29                              // 000000004684: D3D940D2 1800011D
	v_accvgpr_read_b32 v29, a211                               // 00000000468C: D3D8401D 180001D3
	v_mul_f32_e32 v29, v28, v29                                // 000000004694: 0A3A3B1C
	v_accvgpr_write_b32 a211, v29                              // 000000004698: D3D940D3 1800011D
	v_accvgpr_read_b32 v29, a212                               // 0000000046A0: D3D8401D 180001D4
	v_mul_f32_e32 v29, v28, v29                                // 0000000046A8: 0A3A3B1C
	v_accvgpr_write_b32 a212, v29                              // 0000000046AC: D3D940D4 1800011D
	v_accvgpr_read_b32 v29, a213                               // 0000000046B4: D3D8401D 180001D5
	v_mul_f32_e32 v29, v28, v29                                // 0000000046BC: 0A3A3B1C
	v_accvgpr_write_b32 a213, v29                              // 0000000046C0: D3D940D5 1800011D
	v_accvgpr_read_b32 v29, a214                               // 0000000046C8: D3D8401D 180001D6
	v_mul_f32_e32 v29, v28, v29                                // 0000000046D0: 0A3A3B1C
	v_accvgpr_write_b32 a214, v29                              // 0000000046D4: D3D940D6 1800011D
	v_accvgpr_read_b32 v29, a215                               // 0000000046DC: D3D8401D 180001D7
	v_mul_f32_e32 v29, v28, v29                                // 0000000046E4: 0A3A3B1C
	v_accvgpr_write_b32 a215, v29                              // 0000000046E8: D3D940D7 1800011D
	v_accvgpr_read_b32 v29, a216                               // 0000000046F0: D3D8401D 180001D8
	v_mul_f32_e32 v29, v28, v29                                // 0000000046F8: 0A3A3B1C
	v_accvgpr_write_b32 a216, v29                              // 0000000046FC: D3D940D8 1800011D
	v_accvgpr_read_b32 v29, a217                               // 000000004704: D3D8401D 180001D9
	v_mul_f32_e32 v29, v28, v29                                // 00000000470C: 0A3A3B1C
	v_accvgpr_write_b32 a217, v29                              // 000000004710: D3D940D9 1800011D
	v_accvgpr_read_b32 v29, a218                               // 000000004718: D3D8401D 180001DA
	v_mul_f32_e32 v29, v28, v29                                // 000000004720: 0A3A3B1C
	v_accvgpr_write_b32 a218, v29                              // 000000004724: D3D940DA 1800011D
	v_accvgpr_read_b32 v29, a219                               // 00000000472C: D3D8401D 180001DB
	v_mul_f32_e32 v29, v28, v29                                // 000000004734: 0A3A3B1C
	v_accvgpr_write_b32 a219, v29                              // 000000004738: D3D940DB 1800011D
	v_accvgpr_read_b32 v29, a220                               // 000000004740: D3D8401D 180001DC
	v_mul_f32_e32 v29, v28, v29                                // 000000004748: 0A3A3B1C
	v_accvgpr_write_b32 a220, v29                              // 00000000474C: D3D940DC 1800011D
	v_accvgpr_read_b32 v29, a221                               // 000000004754: D3D8401D 180001DD
	v_mul_f32_e32 v29, v28, v29                                // 00000000475C: 0A3A3B1C
	v_accvgpr_write_b32 a221, v29                              // 000000004760: D3D940DD 1800011D
	v_accvgpr_read_b32 v29, a222                               // 000000004768: D3D8401D 180001DE
	v_mul_f32_e32 v29, v28, v29                                // 000000004770: 0A3A3B1C
	v_accvgpr_write_b32 a222, v29                              // 000000004774: D3D940DE 1800011D
	v_accvgpr_read_b32 v29, a223                               // 00000000477C: D3D8401D 180001DF
	v_mul_f32_e32 v29, v28, v29                                // 000000004784: 0A3A3B1C
	v_accvgpr_write_b32 a223, v29                              // 000000004788: D3D940DF 1800011D
	v_accvgpr_read_b32 v29, a224                               // 000000004790: D3D8401D 180001E0
	v_mul_f32_e32 v29, v28, v29                                // 000000004798: 0A3A3B1C
	v_accvgpr_write_b32 a224, v29                              // 00000000479C: D3D940E0 1800011D
	v_accvgpr_read_b32 v29, a225                               // 0000000047A4: D3D8401D 180001E1
	v_mul_f32_e32 v29, v28, v29                                // 0000000047AC: 0A3A3B1C
	v_accvgpr_write_b32 a225, v29                              // 0000000047B0: D3D940E1 1800011D
	v_accvgpr_read_b32 v29, a226                               // 0000000047B8: D3D8401D 180001E2
	v_mul_f32_e32 v29, v28, v29                                // 0000000047C0: 0A3A3B1C
	v_accvgpr_write_b32 a226, v29                              // 0000000047C4: D3D940E2 1800011D
	v_accvgpr_read_b32 v29, a227                               // 0000000047CC: D3D8401D 180001E3
	v_mul_f32_e32 v29, v28, v29                                // 0000000047D4: 0A3A3B1C
	v_accvgpr_write_b32 a227, v29                              // 0000000047D8: D3D940E3 1800011D
	v_accvgpr_read_b32 v29, a228                               // 0000000047E0: D3D8401D 180001E4
	v_mul_f32_e32 v29, v28, v29                                // 0000000047E8: 0A3A3B1C
	v_accvgpr_write_b32 a228, v29                              // 0000000047EC: D3D940E4 1800011D
	v_accvgpr_read_b32 v29, a229                               // 0000000047F4: D3D8401D 180001E5
	v_mul_f32_e32 v29, v28, v29                                // 0000000047FC: 0A3A3B1C
	v_accvgpr_write_b32 a229, v29                              // 000000004800: D3D940E5 1800011D
	v_accvgpr_read_b32 v29, a230                               // 000000004808: D3D8401D 180001E6
	v_mul_f32_e32 v29, v28, v29                                // 000000004810: 0A3A3B1C
	v_accvgpr_write_b32 a230, v29                              // 000000004814: D3D940E6 1800011D
	v_accvgpr_read_b32 v29, a231                               // 00000000481C: D3D8401D 180001E7
	v_mul_f32_e32 v29, v28, v29                                // 000000004824: 0A3A3B1C
	v_accvgpr_write_b32 a231, v29                              // 000000004828: D3D940E7 1800011D
	v_accvgpr_read_b32 v29, a232                               // 000000004830: D3D8401D 180001E8
	v_mul_f32_e32 v29, v28, v29                                // 000000004838: 0A3A3B1C
	v_accvgpr_write_b32 a232, v29                              // 00000000483C: D3D940E8 1800011D
	v_accvgpr_read_b32 v29, a233                               // 000000004844: D3D8401D 180001E9
	v_mul_f32_e32 v29, v28, v29                                // 00000000484C: 0A3A3B1C
	v_accvgpr_write_b32 a233, v29                              // 000000004850: D3D940E9 1800011D
	v_accvgpr_read_b32 v29, a234                               // 000000004858: D3D8401D 180001EA
	v_mul_f32_e32 v29, v28, v29                                // 000000004860: 0A3A3B1C
	v_accvgpr_write_b32 a234, v29                              // 000000004864: D3D940EA 1800011D
	v_accvgpr_read_b32 v29, a235                               // 00000000486C: D3D8401D 180001EB
	v_mul_f32_e32 v29, v28, v29                                // 000000004874: 0A3A3B1C
	v_accvgpr_write_b32 a235, v29                              // 000000004878: D3D940EB 1800011D
	v_accvgpr_read_b32 v29, a236                               // 000000004880: D3D8401D 180001EC
	v_mul_f32_e32 v29, v28, v29                                // 000000004888: 0A3A3B1C
	v_accvgpr_write_b32 a236, v29                              // 00000000488C: D3D940EC 1800011D
	v_accvgpr_read_b32 v29, a237                               // 000000004894: D3D8401D 180001ED
	v_mul_f32_e32 v29, v28, v29                                // 00000000489C: 0A3A3B1C
	v_accvgpr_write_b32 a237, v29                              // 0000000048A0: D3D940ED 1800011D
	v_accvgpr_read_b32 v29, a238                               // 0000000048A8: D3D8401D 180001EE
	v_mul_f32_e32 v29, v28, v29                                // 0000000048B0: 0A3A3B1C
	v_accvgpr_write_b32 a238, v29                              // 0000000048B4: D3D940EE 1800011D
	v_accvgpr_read_b32 v29, a239                               // 0000000048BC: D3D8401D 180001EF
	v_mul_f32_e32 v29, v28, v29                                // 0000000048C4: 0A3A3B1C
	v_accvgpr_write_b32 a239, v29                              // 0000000048C8: D3D940EF 1800011D
	s_waitcnt lgkmcnt(0)                                       // 0000000048D0: BF8CC07F
	v_mfma_f32_32x32x64_f8f6f4 v[64:79], a[72:79], v[32:39], v[64:79]// 0000000048D4: D3AE0040 0D024148
	ds_read_b64_tr_b8 a[72:73], v9 offset:4096                 // 0000000048DC: DBC41000 48000009
	ds_read_b64_tr_b8 a[74:75], v10 offset:4096                // 0000000048E4: DBC41000 4A00000A
	ds_read_b64_tr_b8 a[76:77], v9 offset:22528                // 0000000048EC: DBC45800 4C000009
	ds_read_b64_tr_b8 a[78:79], v10 offset:22528               // 0000000048F4: DBC45800 4E00000A
	v_mfma_f32_32x32x64_f8f6f4 v[80:95], a[80:87], v[32:39], v[80:95]// 0000000048FC: D3AE0050 0D424150
	ds_read_b64_tr_b8 a[80:81], v11 offset:4096                // 000000004904: DBC41000 5000000B
	ds_read_b64_tr_b8 a[82:83], v12 offset:4096                // 00000000490C: DBC41000 5200000C
	ds_read_b64_tr_b8 a[84:85], v11 offset:22528               // 000000004914: DBC45800 5400000B
	ds_read_b64_tr_b8 a[86:87], v12 offset:22528               // 00000000491C: DBC45800 5600000C
	v_mfma_f32_32x32x64_f8f6f4 v[96:111], a[88:95], v[32:39], v[96:111]// 000000004924: D3AE0060 0D824158
	ds_read_b64_tr_b8 a[88:89], v9 offset:5120                 // 00000000492C: DBC41400 58000009
	ds_read_b64_tr_b8 a[90:91], v10 offset:5120                // 000000004934: DBC41400 5A00000A
	ds_read_b64_tr_b8 a[92:93], v9 offset:23552                // 00000000493C: DBC45C00 5C000009
	ds_read_b64_tr_b8 a[94:95], v10 offset:23552               // 000000004944: DBC45C00 5E00000A
	v_mfma_f32_32x32x64_f8f6f4 v[112:127], a[96:103], v[32:39], v[112:127]// 00000000494C: D3AE0070 0DC24160
	ds_read_b64_tr_b8 a[96:97], v11 offset:5120                // 000000004954: DBC41400 6000000B
	ds_read_b64_tr_b8 a[98:99], v12 offset:5120                // 00000000495C: DBC41400 6200000C
	ds_read_b64_tr_b8 a[100:101], v11 offset:23552             // 000000004964: DBC45C00 6400000B
	ds_read_b64_tr_b8 a[102:103], v12 offset:23552             // 00000000496C: DBC45C00 6600000C
	v_mfma_f32_32x32x64_f8f6f4 v[128:143], a[104:111], v[32:39], v[128:143]// 000000004974: D3AE0080 0E024168
	ds_read_b64_tr_b8 a[104:105], v9 offset:6144               // 00000000497C: DBC41800 68000009
	ds_read_b64_tr_b8 a[106:107], v10 offset:6144              // 000000004984: DBC41800 6A00000A
	ds_read_b64_tr_b8 a[108:109], v9 offset:24576              // 00000000498C: DBC46000 6C000009
	ds_read_b64_tr_b8 a[110:111], v10 offset:24576             // 000000004994: DBC46000 6E00000A
	v_mfma_f32_32x32x64_f8f6f4 v[144:159], a[112:119], v[32:39], v[144:159]// 00000000499C: D3AE0090 0E424170
	ds_read_b64_tr_b8 a[112:113], v11 offset:6144              // 0000000049A4: DBC41800 7000000B
	ds_read_b64_tr_b8 a[114:115], v12 offset:6144              // 0000000049AC: DBC41800 7200000C
	ds_read_b64_tr_b8 a[116:117], v11 offset:24576             // 0000000049B4: DBC46000 7400000B
	ds_read_b64_tr_b8 a[118:119], v12 offset:24576             // 0000000049BC: DBC46000 7600000C
	v_mfma_f32_32x32x64_f8f6f4 v[160:175], a[120:127], v[32:39], v[160:175]// 0000000049C4: D3AE00A0 0E824178
	ds_read_b64_tr_b8 a[120:121], v9 offset:7168               // 0000000049CC: DBC41C00 78000009
	ds_read_b64_tr_b8 a[122:123], v10 offset:7168              // 0000000049D4: DBC41C00 7A00000A
	ds_read_b64_tr_b8 a[124:125], v9 offset:25600              // 0000000049DC: DBC46400 7C000009
	ds_read_b64_tr_b8 a[126:127], v10 offset:25600             // 0000000049E4: DBC46400 7E00000A
	v_mfma_f32_32x32x64_f8f6f4 v[176:191], a[128:135], v[32:39], v[176:191]// 0000000049EC: D3AE00B0 0EC24180
	ds_read_b64_tr_b8 a[128:129], v11 offset:7168              // 0000000049F4: DBC41C00 8000000B
	ds_read_b64_tr_b8 a[130:131], v12 offset:7168              // 0000000049FC: DBC41C00 8200000C
	ds_read_b64_tr_b8 a[132:133], v11 offset:25600             // 000000004A04: DBC46400 8400000B
	ds_read_b64_tr_b8 a[134:135], v12 offset:25600             // 000000004A0C: DBC46400 8600000C
	s_waitcnt lgkmcnt(0)                                       // 000000004A14: BF8CC07F
	v_mfma_f32_32x32x64_f8f6f4 v[192:207], a[72:79], v[32:39], v[192:207]// 000000004A18: D3AE00C0 0F024148
	v_mfma_f32_32x32x64_f8f6f4 v[208:223], a[80:87], v[32:39], v[208:223]// 000000004A20: D3AE00D0 0F424150
	s_waitcnt vmcnt(10)                                        // 000000004A28: BF8C0F7A
	s_barrier                                                  // 000000004A2C: BF8A0000
	ds_read_b128 a[72:75], v22                                 // 000000004A30: DBFE0000 48000016
	ds_read_b128 a[76:79], v23                                 // 000000004A38: DBFE0000 4C000017
	v_mfma_f32_32x32x64_f8f6f4 a[144:159], a[88:95], v[32:39], a[144:159]// 000000004A40: D3AE8090 0E424158
	ds_read_b128 a[80:83], v22 offset:1024                     // 000000004A48: DBFE0400 50000016
	ds_read_b128 a[84:87], v23 offset:1024                     // 000000004A50: DBFE0400 54000017
	v_mfma_f32_32x32x64_f8f6f4 a[160:175], a[96:103], v[32:39], a[160:175]// 000000004A58: D3AE80A0 0E824160
	ds_read_b128 a[88:91], v22 offset:2048                     // 000000004A60: DBFE0800 58000016
	ds_read_b128 a[92:95], v23 offset:2048                     // 000000004A68: DBFE0800 5C000017
	v_mfma_f32_32x32x64_f8f6f4 a[176:191], a[104:111], v[32:39], a[176:191]// 000000004A70: D3AE80B0 0EC24168
	ds_read_b128 a[96:99], v22 offset:3072                     // 000000004A78: DBFE0C00 60000016
	ds_read_b128 a[100:103], v23 offset:3072                   // 000000004A80: DBFE0C00 64000017
	v_mfma_f32_32x32x64_f8f6f4 a[192:207], a[112:119], v[32:39], a[192:207]// 000000004A88: D3AE80C0 0F024170
	ds_read_b128 a[104:107], v22 offset:4096                   // 000000004A90: DBFE1000 68000016
	ds_read_b128 a[108:111], v23 offset:4096                   // 000000004A98: DBFE1000 6C000017
	v_mfma_f32_32x32x64_f8f6f4 a[208:223], a[120:127], v[32:39], a[208:223]// 000000004AA0: D3AE80D0 0F424178
	ds_read_b128 a[112:115], v22 offset:5120                   // 000000004AA8: DBFE1400 70000016
	ds_read_b128 a[116:119], v23 offset:5120                   // 000000004AB0: DBFE1400 74000017
	v_mfma_f32_32x32x64_f8f6f4 a[224:239], a[128:135], v[32:39], a[224:239]// 000000004AB8: D3AE80E0 0F824180
	ds_read_b128 a[120:123], v22 offset:6144                   // 000000004AC0: DBFE1800 78000016
	ds_read_b128 a[124:127], v23 offset:6144                   // 000000004AC8: DBFE1800 7C000017
	ds_read_b128 a[128:131], v22 offset:7168                   // 000000004AD0: DBFE1C00 80000016
	ds_read_b128 a[132:135], v23 offset:7168                   // 000000004AD8: DBFE1C00 84000017
	ds_read_b128 a[136:139], v22 offset:8192                   // 000000004AE0: DBFE2000 88000016
	ds_read_b128 a[140:143], v23 offset:8192                   // 000000004AE8: DBFE2000 8C000017
	s_addk_i32 s70, 0x1                                        // 000000004AF0: B7460001
	s_cmp_lt_i32 s70, s71                                      // 000000004AF4: BF044746
	s_cbranch_scc0 label_52C0                                  // 000000004AF8: BF840AF1
	s_waitcnt lgkmcnt(4)                                       // 000000004AFC: BF8CC47F
	v_mfma_f32_32x32x64_f8f6f4 v[32:47], a[72:79], a[0:7], 0   // 000000004B00: D3AE0020 1A020148
	v_mul_u32_u24_e64 v31, v24, s68                            // 000000004B08: D108001F 00008918
	v_add_u32_e32 v31, v31, v1                                 // 000000004B10: 683E031F
	buffer_load_dword v26, v27, s[24:27], 0 offen              // 000000004B14: E0501000 80061A1B
	v_mfma_f32_32x32x64_f8f6f4 v[32:47], a[80:87], a[8:15], v[32:47]// 000000004B1C: D3AE0020 1C821150
	s_mov_b32 s56, 0x14000                                     // 000000004B24: BEB800FF 00014000
	s_mul_i32 s57, s7, 0x2400                                  // 000000004B2C: 9239FF07 00002400
	s_add_u32 m0, s56, s57                                     // 000000004B34: 807C3938
	buffer_load_dwordx4 v31, s[20:23], 0 offen lds             // 000000004B38: E05D1000 8005001F
	s_add_i32 m0, m0, 0x3c0                                    // 000000004B40: 817CFF7C 000003C0
	v_mfma_f32_32x32x64_f8f6f4 v[32:47], a[88:95], a[16:23], v[32:47]// 000000004B48: D3AE0020 1C822158
	ds_read_b128 a[72:75], v22 offset:18432                    // 000000004B50: DBFE4800 48000016
	ds_read_b128 a[76:79], v23 offset:18432                    // 000000004B58: DBFE4800 4C000017
	v_mfma_f32_32x32x64_f8f6f4 v[32:47], a[96:103], a[24:31], v[32:47]// 000000004B60: D3AE0020 1C823160
	buffer_load_dwordx4 v31, s[20:23], 0 offen offset:64 lds   // 000000004B68: E05D1040 8005001F
	s_add_i32 m0, m0, 0x3c0                                    // 000000004B70: 817CFF7C 000003C0
	ds_read_b128 a[80:83], v22 offset:19456                    // 000000004B78: DBFE4C00 50000016
	ds_read_b128 a[84:87], v23 offset:19456                    // 000000004B80: DBFE4C00 54000017
	v_mfma_f32_32x32x64_f8f6f4 v[32:47], a[104:111], a[32:39], v[32:47]// 000000004B88: D3AE0020 1C824168
	ds_read_b128 a[88:91], v22 offset:20480                    // 000000004B90: DBFE5000 58000016
	ds_read_b128 a[92:95], v23 offset:20480                    // 000000004B98: DBFE5000 5C000017
	v_mfma_f32_32x32x64_f8f6f4 v[32:47], a[112:119], a[40:47], v[32:47]// 000000004BA0: D3AE0020 1C825170
	buffer_load_dwordx4 v31, s[20:23], 0 offen offset:128 lds  // 000000004BA8: E05D1080 8005001F
	s_add_i32 m0, m0, 0x3c0                                    // 000000004BB0: 817CFF7C 000003C0
	ds_read_b128 a[96:99], v22 offset:21504                    // 000000004BB8: DBFE5400 60000016
	ds_read_b128 a[100:103], v23 offset:21504                  // 000000004BC0: DBFE5400 64000017
	v_mfma_f32_32x32x64_f8f6f4 v[32:47], a[120:127], a[48:55], v[32:47]// 000000004BC8: D3AE0020 1C826178
	ds_read_b128 a[104:107], v22 offset:22528                  // 000000004BD0: DBFE5800 68000016
	ds_read_b128 a[108:111], v23 offset:22528                  // 000000004BD8: DBFE5800 6C000017
	v_mfma_f32_32x32x64_f8f6f4 v[32:47], a[128:135], a[56:63], v[32:47]// 000000004BE0: D3AE0020 1C827180
	buffer_load_dwordx4 v31, s[20:23], 0 offen offset:192 lds  // 000000004BE8: E05D10C0 8005001F
	s_add_i32 m0, m0, 0x3c0                                    // 000000004BF0: 817CFF7C 000003C0
	ds_read_b128 a[112:115], v22 offset:23552                  // 000000004BF8: DBFE5C00 70000016
	ds_read_b128 a[116:119], v23 offset:23552                  // 000000004C00: DBFE5C00 74000017
	v_mfma_f32_32x32x64_f8f6f4 v[32:47], a[136:143], a[64:71], v[32:47]// 000000004C08: D3AE0020 1C828188
	ds_read_b128 a[120:123], v22 offset:24576                  // 000000004C10: DBFE6000 78000016
	ds_read_b128 a[124:127], v23 offset:24576                  // 000000004C18: DBFE6000 7C000017
	buffer_load_dwordx4 v31, s[20:23], 0 offen offset:256 lds  // 000000004C20: E05D1100 8005001F
	s_add_i32 m0, m0, 0x3c0                                    // 000000004C28: 817CFF7C 000003C0
	buffer_load_dwordx4 v31, s[20:23], 0 offen offset:320 lds  // 000000004C30: E05D1140 8005001F
	s_add_i32 m0, m0, 0x3c0                                    // 000000004C38: 817CFF7C 000003C0
	buffer_load_dwordx4 v31, s[20:23], 0 offen offset:384 lds  // 000000004C40: E05D1180 8005001F
	s_add_i32 m0, m0, 0x3c0                                    // 000000004C48: 817CFF7C 000003C0
	buffer_load_dwordx4 v31, s[20:23], 0 offen offset:448 lds  // 000000004C50: E05D11C0 8005001F
	s_add_i32 m0, m0, 0x3c0                                    // 000000004C58: 817CFF7C 000003C0
	buffer_load_dwordx4 v31, s[20:23], 0 offen offset:512 lds  // 000000004C60: E05D1200 8005001F
	s_add_i32 m0, m0, 0x3c0                                    // 000000004C68: 817CFF7C 000003C0
	ds_read_b128 a[128:131], v22 offset:25600                  // 000000004C70: DBFE6400 80000016
	ds_read_b128 a[132:135], v23 offset:25600                  // 000000004C78: DBFE6400 84000017
	ds_read_b128 a[136:139], v22 offset:26624                  // 000000004C80: DBFE6800 88000016
	ds_read_b128 a[140:143], v23 offset:26624                  // 000000004C88: DBFE6800 8C000017
	v_add_u32_e32 v27, s73, v27                                // 000000004C90: 68363649
	s_waitcnt lgkmcnt(4)                                       // 000000004C94: BF8CC47F
	v_mfma_f32_32x32x64_f8f6f4 v[48:63], a[72:79], a[0:7], 0   // 000000004C98: D3AE0030 1A020148
	v_mfma_f32_32x32x64_f8f6f4 v[48:63], a[80:87], a[8:15], v[48:63]// 000000004CA0: D3AE0030 1CC21150
	v_mfma_f32_32x32x64_f8f6f4 v[48:63], a[88:95], a[16:23], v[48:63]// 000000004CA8: D3AE0030 1CC22158
	ds_read_b64_tr_b8 a[72:73], v13                            // 000000004CB0: DBC40000 4800000D
	ds_read_b64_tr_b8 a[74:75], v14                            // 000000004CB8: DBC40000 4A00000E
	ds_read_b64_tr_b8 a[76:77], v13 offset:18432               // 000000004CC0: DBC44800 4C00000D
	ds_read_b64_tr_b8 a[78:79], v14 offset:18432               // 000000004CC8: DBC44800 4E00000E
	v_mfma_f32_32x32x64_f8f6f4 v[48:63], a[96:103], a[24:31], v[48:63]// 000000004CD0: D3AE0030 1CC23160
	ds_read_b64_tr_b8 a[80:81], v15                            // 000000004CD8: DBC40000 5000000F
	ds_read_b64_tr_b8 a[82:83], v16                            // 000000004CE0: DBC40000 52000010
	ds_read_b64_tr_b8 a[84:85], v15 offset:18432               // 000000004CE8: DBC44800 5400000F
	ds_read_b64_tr_b8 a[86:87], v16 offset:18432               // 000000004CF0: DBC44800 56000010
	v_mfma_f32_32x32x64_f8f6f4 v[48:63], a[104:111], a[32:39], v[48:63]// 000000004CF8: D3AE0030 1CC24168
	ds_read_b64_tr_b8 a[88:89], v13 offset:1024                // 000000004D00: DBC40400 5800000D
	ds_read_b64_tr_b8 a[90:91], v14 offset:1024                // 000000004D08: DBC40400 5A00000E
	ds_read_b64_tr_b8 a[92:93], v13 offset:19456               // 000000004D10: DBC44C00 5C00000D
	ds_read_b64_tr_b8 a[94:95], v14 offset:19456               // 000000004D18: DBC44C00 5E00000E
	v_mfma_f32_32x32x64_f8f6f4 v[48:63], a[112:119], a[40:47], v[48:63]// 000000004D20: D3AE0030 1CC25170
	ds_read_b64_tr_b8 a[96:97], v15 offset:1024                // 000000004D28: DBC40400 6000000F
	ds_read_b64_tr_b8 a[98:99], v16 offset:1024                // 000000004D30: DBC40400 62000010
	ds_read_b64_tr_b8 a[100:101], v15 offset:19456             // 000000004D38: DBC44C00 6400000F
	ds_read_b64_tr_b8 a[102:103], v16 offset:19456             // 000000004D40: DBC44C00 66000010
	v_mfma_f32_32x32x64_f8f6f4 v[48:63], a[120:127], a[48:55], v[48:63]// 000000004D48: D3AE0030 1CC26178
	ds_read_b64_tr_b8 a[104:105], v13 offset:2048              // 000000004D50: DBC40800 6800000D
	ds_read_b64_tr_b8 a[106:107], v14 offset:2048              // 000000004D58: DBC40800 6A00000E
	ds_read_b64_tr_b8 a[108:109], v13 offset:20480             // 000000004D60: DBC45000 6C00000D
	ds_read_b64_tr_b8 a[110:111], v14 offset:20480             // 000000004D68: DBC45000 6E00000E
	v_mfma_f32_32x32x64_f8f6f4 v[48:63], a[128:135], a[56:63], v[48:63]// 000000004D70: D3AE0030 1CC27180
	ds_read_b64_tr_b8 a[112:113], v15 offset:2048              // 000000004D78: DBC40800 7000000F
	ds_read_b64_tr_b8 a[114:115], v16 offset:2048              // 000000004D80: DBC40800 72000010
	ds_read_b64_tr_b8 a[116:117], v15 offset:20480             // 000000004D88: DBC45000 7400000F
	ds_read_b64_tr_b8 a[118:119], v16 offset:20480             // 000000004D90: DBC45000 76000010
	v_mfma_f32_32x32x64_f8f6f4 v[48:63], a[136:143], a[64:71], v[48:63]// 000000004D98: D3AE0030 1CC28188
	ds_read_b64_tr_b8 a[120:121], v13 offset:3072              // 000000004DA0: DBC40C00 7800000D
	ds_read_b64_tr_b8 a[122:123], v14 offset:3072              // 000000004DA8: DBC40C00 7A00000E
	ds_read_b64_tr_b8 a[124:125], v13 offset:21504             // 000000004DB0: DBC45400 7C00000D
	ds_read_b64_tr_b8 a[126:127], v14 offset:21504             // 000000004DB8: DBC45400 7E00000E
	ds_read_b64_tr_b8 a[128:129], v15 offset:3072              // 000000004DC0: DBC40C00 8000000F
	ds_read_b64_tr_b8 a[130:131], v16 offset:3072              // 000000004DC8: DBC40C00 82000010
	ds_read_b64_tr_b8 a[132:133], v15 offset:21504             // 000000004DD0: DBC45400 8400000F
	ds_read_b64_tr_b8 a[134:135], v16 offset:21504             // 000000004DD8: DBC45400 86000010
	s_cmp_le_i32 s83, s82                                      // 000000004DE0: BF055253
	s_cbranch_scc1 label_2D38                                  // 000000004DE4: BF8500D4
	v_mov_b32_e32 v28, s82                                     // 000000004DE8: 7E380252
	s_cmp_eq_i32 s81, 1                                        // 000000004DEC: BF008151
	s_cbranch_scc1 label_2A14                                  // 000000004DF0: BF850008
	s_cmp_eq_i32 s81, 2                                        // 000000004DF4: BF008251
	s_cbranch_scc1 label_2A08                                  // 000000004DF8: BF850003
	v_add_i32 v28, s7, v28                                     // 000000004DFC: D29C001C 00023807
	s_branch label_2A14                                        // 000000004E04: BF820003

0000000000004e08 <label_2A08>:
	s_lshr_b32 s56, s7, 1                                      // 000000004E08: 8F388107
	v_add_u32_e32 v28, s56, v28                                // 000000004E0C: 68383838
	s_branch label_2A14                                        // 000000004E10: BF820000

0000000000004e14 <label_2A14>:
	s_sub_u32 s56, s83, 63                                     // 000000004E14: 80B8BF53
	v_lshrrev_b32_e32 v223, 5, v0                              // 000000004E18: 21BE0085
	v_mul_i32_i24_e32 v223, 4, v223                            // 000000004E1C: 0DBFBE84
	v_add_u32_e32 v223, s56, v223                              // 000000004E20: 69BFBE38
	v_add_u32_e32 v224, 1, v223                                // 000000004E24: 69C1BE81
	v_add_u32_e32 v225, 2, v223                                // 000000004E28: 69C3BE82
	v_add_u32_e32 v226, 3, v223                                // 000000004E2C: 69C5BE83
	v_mov_b32_e32 v31, 0xff800000                              // 000000004E30: 7E3E02FF FF800000
	v_cmp_le_i32_e64 s[36:37], v223, v28                       // 000000004E38: D0C30024 000239DF
	s_nop 0                                                    // 000000004E40: BF800000
	v_cndmask_b32_e64 v32, v31, v32, s[36:37]                  // 000000004E44: D1000020 0092411F
	v_add_u32_e32 v223, 8, v223                                // 000000004E4C: 69BFBE88
	v_cmp_le_i32_e64 s[36:37], v224, v28                       // 000000004E50: D0C30024 000239E0
	s_nop 0                                                    // 000000004E58: BF800000
	v_cndmask_b32_e64 v33, v31, v33, s[36:37]                  // 000000004E5C: D1000021 0092431F
	v_add_u32_e32 v224, 8, v224                                // 000000004E64: 69C1C088
	v_cmp_le_i32_e64 s[36:37], v225, v28                       // 000000004E68: D0C30024 000239E1
	s_nop 0                                                    // 000000004E70: BF800000
	v_cndmask_b32_e64 v34, v31, v34, s[36:37]                  // 000000004E74: D1000022 0092451F
	v_add_u32_e32 v225, 8, v225                                // 000000004E7C: 69C3C288
	v_cmp_le_i32_e64 s[36:37], v226, v28                       // 000000004E80: D0C30024 000239E2
	s_nop 0                                                    // 000000004E88: BF800000
	v_cndmask_b32_e64 v35, v31, v35, s[36:37]                  // 000000004E8C: D1000023 0092471F
	v_add_u32_e32 v226, 8, v226                                // 000000004E94: 69C5C488
	v_cmp_le_i32_e64 s[36:37], v223, v28                       // 000000004E98: D0C30024 000239DF
	s_nop 0                                                    // 000000004EA0: BF800000
	v_cndmask_b32_e64 v36, v31, v36, s[36:37]                  // 000000004EA4: D1000024 0092491F
	v_add_u32_e32 v223, 8, v223                                // 000000004EAC: 69BFBE88
	v_cmp_le_i32_e64 s[36:37], v224, v28                       // 000000004EB0: D0C30024 000239E0
	s_nop 0                                                    // 000000004EB8: BF800000
	v_cndmask_b32_e64 v37, v31, v37, s[36:37]                  // 000000004EBC: D1000025 00924B1F
	v_add_u32_e32 v224, 8, v224                                // 000000004EC4: 69C1C088
	v_cmp_le_i32_e64 s[36:37], v225, v28                       // 000000004EC8: D0C30024 000239E1
	s_nop 0                                                    // 000000004ED0: BF800000
	v_cndmask_b32_e64 v38, v31, v38, s[36:37]                  // 000000004ED4: D1000026 00924D1F
	v_add_u32_e32 v225, 8, v225                                // 000000004EDC: 69C3C288
	v_cmp_le_i32_e64 s[36:37], v226, v28                       // 000000004EE0: D0C30024 000239E2
	s_nop 0                                                    // 000000004EE8: BF800000
	v_cndmask_b32_e64 v39, v31, v39, s[36:37]                  // 000000004EEC: D1000027 00924F1F
	v_add_u32_e32 v226, 8, v226                                // 000000004EF4: 69C5C488
	v_cmp_le_i32_e64 s[36:37], v223, v28                       // 000000004EF8: D0C30024 000239DF
	s_nop 0                                                    // 000000004F00: BF800000
	v_cndmask_b32_e64 v40, v31, v40, s[36:37]                  // 000000004F04: D1000028 0092511F
	v_add_u32_e32 v223, 8, v223                                // 000000004F0C: 69BFBE88
	v_cmp_le_i32_e64 s[36:37], v224, v28                       // 000000004F10: D0C30024 000239E0
	s_nop 0                                                    // 000000004F18: BF800000
	v_cndmask_b32_e64 v41, v31, v41, s[36:37]                  // 000000004F1C: D1000029 0092531F
	v_add_u32_e32 v224, 8, v224                                // 000000004F24: 69C1C088
	v_cmp_le_i32_e64 s[36:37], v225, v28                       // 000000004F28: D0C30024 000239E1
	s_nop 0                                                    // 000000004F30: BF800000
	v_cndmask_b32_e64 v42, v31, v42, s[36:37]                  // 000000004F34: D100002A 0092551F
	v_add_u32_e32 v225, 8, v225                                // 000000004F3C: 69C3C288
	v_cmp_le_i32_e64 s[36:37], v226, v28                       // 000000004F40: D0C30024 000239E2
	s_nop 0                                                    // 000000004F48: BF800000
	v_cndmask_b32_e64 v43, v31, v43, s[36:37]                  // 000000004F4C: D100002B 0092571F
	v_add_u32_e32 v226, 8, v226                                // 000000004F54: 69C5C488
	v_cmp_le_i32_e64 s[36:37], v223, v28                       // 000000004F58: D0C30024 000239DF
	s_nop 0                                                    // 000000004F60: BF800000
	v_cndmask_b32_e64 v44, v31, v44, s[36:37]                  // 000000004F64: D100002C 0092591F
	v_add_u32_e32 v223, 8, v223                                // 000000004F6C: 69BFBE88
	v_cmp_le_i32_e64 s[36:37], v224, v28                       // 000000004F70: D0C30024 000239E0
	s_nop 0                                                    // 000000004F78: BF800000
	v_cndmask_b32_e64 v45, v31, v45, s[36:37]                  // 000000004F7C: D100002D 00925B1F
	v_add_u32_e32 v224, 8, v224                                // 000000004F84: 69C1C088
	v_cmp_le_i32_e64 s[36:37], v225, v28                       // 000000004F88: D0C30024 000239E1
	s_nop 0                                                    // 000000004F90: BF800000
	v_cndmask_b32_e64 v46, v31, v46, s[36:37]                  // 000000004F94: D100002E 00925D1F
	v_add_u32_e32 v225, 8, v225                                // 000000004F9C: 69C3C288
	v_cmp_le_i32_e64 s[36:37], v226, v28                       // 000000004FA0: D0C30024 000239E2
	s_nop 0                                                    // 000000004FA8: BF800000
	v_cndmask_b32_e64 v47, v31, v47, s[36:37]                  // 000000004FAC: D100002F 00925F1F
	v_add_u32_e32 v226, 8, v226                                // 000000004FB4: 69C5C488
	v_cmp_le_i32_e64 s[36:37], v223, v28                       // 000000004FB8: D0C30024 000239DF
	s_nop 0                                                    // 000000004FC0: BF800000
	v_cndmask_b32_e64 v48, v31, v48, s[36:37]                  // 000000004FC4: D1000030 0092611F
	v_add_u32_e32 v223, 8, v223                                // 000000004FCC: 69BFBE88
	v_cmp_le_i32_e64 s[36:37], v224, v28                       // 000000004FD0: D0C30024 000239E0
	s_nop 0                                                    // 000000004FD8: BF800000
	v_cndmask_b32_e64 v49, v31, v49, s[36:37]                  // 000000004FDC: D1000031 0092631F
	v_add_u32_e32 v224, 8, v224                                // 000000004FE4: 69C1C088
	v_cmp_le_i32_e64 s[36:37], v225, v28                       // 000000004FE8: D0C30024 000239E1
	s_nop 0                                                    // 000000004FF0: BF800000
	v_cndmask_b32_e64 v50, v31, v50, s[36:37]                  // 000000004FF4: D1000032 0092651F
	v_add_u32_e32 v225, 8, v225                                // 000000004FFC: 69C3C288
	v_cmp_le_i32_e64 s[36:37], v226, v28                       // 000000005000: D0C30024 000239E2
	s_nop 0                                                    // 000000005008: BF800000
	v_cndmask_b32_e64 v51, v31, v51, s[36:37]                  // 00000000500C: D1000033 0092671F
	v_add_u32_e32 v226, 8, v226                                // 000000005014: 69C5C488
	v_cmp_le_i32_e64 s[36:37], v223, v28                       // 000000005018: D0C30024 000239DF
	s_nop 0                                                    // 000000005020: BF800000
	v_cndmask_b32_e64 v52, v31, v52, s[36:37]                  // 000000005024: D1000034 0092691F
	v_add_u32_e32 v223, 8, v223                                // 00000000502C: 69BFBE88
	v_cmp_le_i32_e64 s[36:37], v224, v28                       // 000000005030: D0C30024 000239E0
	s_nop 0                                                    // 000000005038: BF800000
	v_cndmask_b32_e64 v53, v31, v53, s[36:37]                  // 00000000503C: D1000035 00926B1F
	v_add_u32_e32 v224, 8, v224                                // 000000005044: 69C1C088
	v_cmp_le_i32_e64 s[36:37], v225, v28                       // 000000005048: D0C30024 000239E1
	s_nop 0                                                    // 000000005050: BF800000
	v_cndmask_b32_e64 v54, v31, v54, s[36:37]                  // 000000005054: D1000036 00926D1F
	v_add_u32_e32 v225, 8, v225                                // 00000000505C: 69C3C288
	v_cmp_le_i32_e64 s[36:37], v226, v28                       // 000000005060: D0C30024 000239E2
	s_nop 0                                                    // 000000005068: BF800000
	v_cndmask_b32_e64 v55, v31, v55, s[36:37]                  // 00000000506C: D1000037 00926F1F
	v_add_u32_e32 v226, 8, v226                                // 000000005074: 69C5C488
	v_cmp_le_i32_e64 s[36:37], v223, v28                       // 000000005078: D0C30024 000239DF
	s_nop 0                                                    // 000000005080: BF800000
	v_cndmask_b32_e64 v56, v31, v56, s[36:37]                  // 000000005084: D1000038 0092711F
	v_add_u32_e32 v223, 8, v223                                // 00000000508C: 69BFBE88
	v_cmp_le_i32_e64 s[36:37], v224, v28                       // 000000005090: D0C30024 000239E0
	s_nop 0                                                    // 000000005098: BF800000
	v_cndmask_b32_e64 v57, v31, v57, s[36:37]                  // 00000000509C: D1000039 0092731F
	v_add_u32_e32 v224, 8, v224                                // 0000000050A4: 69C1C088
	v_cmp_le_i32_e64 s[36:37], v225, v28                       // 0000000050A8: D0C30024 000239E1
	s_nop 0                                                    // 0000000050B0: BF800000
	v_cndmask_b32_e64 v58, v31, v58, s[36:37]                  // 0000000050B4: D100003A 0092751F
	v_add_u32_e32 v225, 8, v225                                // 0000000050BC: 69C3C288
	v_cmp_le_i32_e64 s[36:37], v226, v28                       // 0000000050C0: D0C30024 000239E2
	s_nop 0                                                    // 0000000050C8: BF800000
	v_cndmask_b32_e64 v59, v31, v59, s[36:37]                  // 0000000050CC: D100003B 0092771F
	v_add_u32_e32 v226, 8, v226                                // 0000000050D4: 69C5C488
	v_cmp_le_i32_e64 s[36:37], v223, v28                       // 0000000050D8: D0C30024 000239DF
	s_nop 0                                                    // 0000000050E0: BF800000
	v_cndmask_b32_e64 v60, v31, v60, s[36:37]                  // 0000000050E4: D100003C 0092791F
	v_add_u32_e32 v223, 8, v223                                // 0000000050EC: 69BFBE88
	v_cmp_le_i32_e64 s[36:37], v224, v28                       // 0000000050F0: D0C30024 000239E0
	s_nop 0                                                    // 0000000050F8: BF800000
	v_cndmask_b32_e64 v61, v31, v61, s[36:37]                  // 0000000050FC: D100003D 00927B1F
	v_add_u32_e32 v224, 8, v224                                // 000000005104: 69C1C088
	v_cmp_le_i32_e64 s[36:37], v225, v28                       // 000000005108: D0C30024 000239E1
	s_nop 0                                                    // 000000005110: BF800000
	v_cndmask_b32_e64 v62, v31, v62, s[36:37]                  // 000000005114: D100003E 00927D1F
	v_add_u32_e32 v225, 8, v225                                // 00000000511C: 69C3C288
	v_cmp_le_i32_e64 s[36:37], v226, v28                       // 000000005120: D0C30024 000239E2
	s_nop 0                                                    // 000000005128: BF800000
	v_cndmask_b32_e64 v63, v31, v63, s[36:37]                  // 00000000512C: D100003F 00927F1F
	v_add_u32_e32 v226, 8, v226                                // 000000005134: 69C5C488

0000000000005138 <label_2D38>:
	s_add_u32 s83, s84, s83                                    // 000000005138: 80535354
	s_nop 2                                                    // 00000000513C: BF800002
	v_mov_b32_e32 v29, v32                                     // 000000005140: 7E3A0320
	v_max3_f32 v29, v32, v33, v29                              // 000000005144: D1D3001D 04764320
	v_max3_f32 v29, v34, v35, v29                              // 00000000514C: D1D3001D 04764722
	v_max3_f32 v29, v36, v37, v29                              // 000000005154: D1D3001D 04764B24
	v_max3_f32 v29, v38, v39, v29                              // 00000000515C: D1D3001D 04764F26
	v_max3_f32 v29, v40, v41, v29                              // 000000005164: D1D3001D 04765328
	v_max3_f32 v29, v42, v43, v29                              // 00000000516C: D1D3001D 0476572A
	v_max3_f32 v29, v44, v45, v29                              // 000000005174: D1D3001D 04765B2C
	v_max3_f32 v29, v46, v47, v29                              // 00000000517C: D1D3001D 04765F2E
	v_max3_f32 v29, v48, v49, v29                              // 000000005184: D1D3001D 04766330
	v_max3_f32 v29, v50, v51, v29                              // 00000000518C: D1D3001D 04766732
	v_max3_f32 v29, v52, v53, v29                              // 000000005194: D1D3001D 04766B34
	v_max3_f32 v29, v54, v55, v29                              // 00000000519C: D1D3001D 04766F36
	v_max3_f32 v29, v56, v57, v29                              // 0000000051A4: D1D3001D 04767338
	v_max3_f32 v29, v58, v59, v29                              // 0000000051AC: D1D3001D 0476773A
	v_max3_f32 v29, v60, v61, v29                              // 0000000051B4: D1D3001D 04767B3C
	v_max3_f32 v29, v62, v63, v29                              // 0000000051BC: D1D3001D 04767F3E
	v_mov_b32_e32 v28, v29                                     // 0000000051C4: 7E38031D
	v_mov_b32_e32 v29, v29                                     // 0000000051C8: 7E3A031D
	s_nop 1                                                    // 0000000051CC: BF800001
	v_permlane32_swap_b32_e32 v28, v29                         // 0000000051D0: 7E38B51D
	v_max3_f32 v29, v28, v29, v29                              // 0000000051D4: D1D3001D 04763B1C
	v_mov_b32_e32 v28, 0xff800000                              // 0000000051DC: 7E3802FF FF800000
	v_cmp_eq_u32_e64 s[36:37], v28, v2                         // 0000000051E4: D0CA0024 0002051C
	v_max_f32_e32 v29, v29, v2                                 // 0000000051EC: 163A051D
	v_sub_f32_e32 v17, v2, v29                                 // 0000000051F0: 04223B02
	v_cndmask_b32_e64 v17, v17, 0, s[36:37]                    // 0000000051F4: D1000011 00910111
	v_mov_b32_e32 v2, v29                                      // 0000000051FC: 7E04031D
	v_mul_f32_e32 v29, s5, v29                                 // 000000005200: 0A3A3A05
	v_mul_f32_e32 v17, s5, v17                                 // 000000005204: 0A222205
	v_exp_f32_e32 v17, v17                                     // 000000005208: 7E224111
	v_fma_f32 v32, v32, s5, -v29                               // 00000000520C: D1CB0020 84740B20
	v_fma_f32 v33, v33, s5, -v29                               // 000000005214: D1CB0021 84740B21
	v_fma_f32 v34, v34, s5, -v29                               // 00000000521C: D1CB0022 84740B22
	v_fma_f32 v35, v35, s5, -v29                               // 000000005224: D1CB0023 84740B23
	v_fma_f32 v36, v36, s5, -v29                               // 00000000522C: D1CB0024 84740B24
	v_fma_f32 v37, v37, s5, -v29                               // 000000005234: D1CB0025 84740B25
	v_fma_f32 v38, v38, s5, -v29                               // 00000000523C: D1CB0026 84740B26
	v_fma_f32 v39, v39, s5, -v29                               // 000000005244: D1CB0027 84740B27
	v_fma_f32 v40, v40, s5, -v29                               // 00000000524C: D1CB0028 84740B28
	v_fma_f32 v41, v41, s5, -v29                               // 000000005254: D1CB0029 84740B29
	v_fma_f32 v42, v42, s5, -v29                               // 00000000525C: D1CB002A 84740B2A
	v_fma_f32 v43, v43, s5, -v29                               // 000000005264: D1CB002B 84740B2B
	v_fma_f32 v44, v44, s5, -v29                               // 00000000526C: D1CB002C 84740B2C
	v_fma_f32 v45, v45, s5, -v29                               // 000000005274: D1CB002D 84740B2D
	v_fma_f32 v46, v46, s5, -v29                               // 00000000527C: D1CB002E 84740B2E
	v_fma_f32 v47, v47, s5, -v29                               // 000000005284: D1CB002F 84740B2F
	v_fma_f32 v48, v48, s5, -v29                               // 00000000528C: D1CB0030 84740B30
	v_fma_f32 v49, v49, s5, -v29                               // 000000005294: D1CB0031 84740B31
	v_fma_f32 v50, v50, s5, -v29                               // 00000000529C: D1CB0032 84740B32
	v_fma_f32 v51, v51, s5, -v29                               // 0000000052A4: D1CB0033 84740B33
	v_fma_f32 v52, v52, s5, -v29                               // 0000000052AC: D1CB0034 84740B34
	v_fma_f32 v53, v53, s5, -v29                               // 0000000052B4: D1CB0035 84740B35
	v_fma_f32 v54, v54, s5, -v29                               // 0000000052BC: D1CB0036 84740B36
	v_fma_f32 v55, v55, s5, -v29                               // 0000000052C4: D1CB0037 84740B37
	v_fma_f32 v56, v56, s5, -v29                               // 0000000052CC: D1CB0038 84740B38
	v_fma_f32 v57, v57, s5, -v29                               // 0000000052D4: D1CB0039 84740B39
	v_fma_f32 v58, v58, s5, -v29                               // 0000000052DC: D1CB003A 84740B3A
	v_fma_f32 v59, v59, s5, -v29                               // 0000000052E4: D1CB003B 84740B3B
	v_fma_f32 v60, v60, s5, -v29                               // 0000000052EC: D1CB003C 84740B3C
	v_fma_f32 v61, v61, s5, -v29                               // 0000000052F4: D1CB003D 84740B3D
	v_fma_f32 v62, v62, s5, -v29                               // 0000000052FC: D1CB003E 84740B3E
	v_fma_f32 v63, v63, s5, -v29                               // 000000005304: D1CB003F 84740B3F
	v_exp_f32_e32 v32, v32                                     // 00000000530C: 7E404120
	v_exp_f32_e32 v33, v33                                     // 000000005310: 7E424121
	v_exp_f32_e32 v34, v34                                     // 000000005314: 7E444122
	v_exp_f32_e32 v35, v35                                     // 000000005318: 7E464123
	v_exp_f32_e32 v36, v36                                     // 00000000531C: 7E484124
	v_exp_f32_e32 v37, v37                                     // 000000005320: 7E4A4125
	v_exp_f32_e32 v38, v38                                     // 000000005324: 7E4C4126
	v_exp_f32_e32 v39, v39                                     // 000000005328: 7E4E4127
	v_exp_f32_e32 v40, v40                                     // 00000000532C: 7E504128
	v_exp_f32_e32 v41, v41                                     // 000000005330: 7E524129
	v_exp_f32_e32 v42, v42                                     // 000000005334: 7E54412A
	v_exp_f32_e32 v43, v43                                     // 000000005338: 7E56412B
	v_exp_f32_e32 v44, v44                                     // 00000000533C: 7E58412C
	v_exp_f32_e32 v45, v45                                     // 000000005340: 7E5A412D
	v_exp_f32_e32 v46, v46                                     // 000000005344: 7E5C412E
	v_exp_f32_e32 v47, v47                                     // 000000005348: 7E5E412F
	v_exp_f32_e32 v48, v48                                     // 00000000534C: 7E604130
	v_exp_f32_e32 v49, v49                                     // 000000005350: 7E624131
	v_exp_f32_e32 v50, v50                                     // 000000005354: 7E644132
	v_exp_f32_e32 v51, v51                                     // 000000005358: 7E664133
	v_exp_f32_e32 v52, v52                                     // 00000000535C: 7E684134
	v_exp_f32_e32 v53, v53                                     // 000000005360: 7E6A4135
	v_exp_f32_e32 v54, v54                                     // 000000005364: 7E6C4136
	v_exp_f32_e32 v55, v55                                     // 000000005368: 7E6E4137
	v_exp_f32_e32 v56, v56                                     // 00000000536C: 7E704138
	v_exp_f32_e32 v57, v57                                     // 000000005370: 7E724139
	v_exp_f32_e32 v58, v58                                     // 000000005374: 7E74413A
	v_exp_f32_e32 v59, v59                                     // 000000005378: 7E76413B
	v_exp_f32_e32 v60, v60                                     // 00000000537C: 7E78413C
	v_exp_f32_e32 v61, v61                                     // 000000005380: 7E7A413D
	v_exp_f32_e32 v62, v62                                     // 000000005384: 7E7C413E
	v_exp_f32_e32 v63, v63                                     // 000000005388: 7E7E413F
	v_mul_f32_e32 v4, v17, v4                                  // 00000000538C: 0A080911
	v_mov_b32_e32 v28, v32                                     // 000000005390: 7E380320
	v_add_f32_e32 v28, v33, v28                                // 000000005394: 02383921
	v_add_f32_e32 v28, v34, v28                                // 000000005398: 02383922
	v_add_f32_e32 v28, v35, v28                                // 00000000539C: 02383923
	v_add_f32_e32 v28, v36, v28                                // 0000000053A0: 02383924
	v_add_f32_e32 v28, v37, v28                                // 0000000053A4: 02383925
	v_add_f32_e32 v28, v38, v28                                // 0000000053A8: 02383926
	v_add_f32_e32 v28, v39, v28                                // 0000000053AC: 02383927
	v_add_f32_e32 v28, v40, v28                                // 0000000053B0: 02383928
	v_add_f32_e32 v28, v41, v28                                // 0000000053B4: 02383929
	v_add_f32_e32 v28, v42, v28                                // 0000000053B8: 0238392A
	v_add_f32_e32 v28, v43, v28                                // 0000000053BC: 0238392B
	v_add_f32_e32 v28, v44, v28                                // 0000000053C0: 0238392C
	v_add_f32_e32 v28, v45, v28                                // 0000000053C4: 0238392D
	v_add_f32_e32 v28, v46, v28                                // 0000000053C8: 0238392E
	v_add_f32_e32 v28, v47, v28                                // 0000000053CC: 0238392F
	v_add_f32_e32 v28, v48, v28                                // 0000000053D0: 02383930
	v_add_f32_e32 v28, v49, v28                                // 0000000053D4: 02383931
	v_add_f32_e32 v28, v50, v28                                // 0000000053D8: 02383932
	v_add_f32_e32 v28, v51, v28                                // 0000000053DC: 02383933
	v_add_f32_e32 v28, v52, v28                                // 0000000053E0: 02383934
	v_add_f32_e32 v28, v53, v28                                // 0000000053E4: 02383935
	v_add_f32_e32 v28, v54, v28                                // 0000000053E8: 02383936
	v_add_f32_e32 v28, v55, v28                                // 0000000053EC: 02383937
	v_add_f32_e32 v28, v56, v28                                // 0000000053F0: 02383938
	v_add_f32_e32 v28, v57, v28                                // 0000000053F4: 02383939
	v_add_f32_e32 v28, v58, v28                                // 0000000053F8: 0238393A
	v_add_f32_e32 v28, v59, v28                                // 0000000053FC: 0238393B
	v_add_f32_e32 v28, v60, v28                                // 000000005400: 0238393C
	v_add_f32_e32 v28, v61, v28                                // 000000005404: 0238393D
	v_add_f32_e32 v28, v62, v28                                // 000000005408: 0238393E
	v_add_f32_e32 v28, v63, v28                                // 00000000540C: 0238393F
	v_add_f32_e32 v4, v28, v4                                  // 000000005410: 0208091C
	v_cvt_pk_fp8_f32 v32, v32, v33                             // 000000005414: D2A20020 00024320
	v_cvt_pk_fp8_f32 v32, v34, v35 op_sel:[0,0,1]              // 00000000541C: D2A24020 00024722
	v_cvt_pk_fp8_f32 v33, v36, v37                             // 000000005424: D2A20021 00024B24
	v_cvt_pk_fp8_f32 v33, v38, v39 op_sel:[0,0,1]              // 00000000542C: D2A24021 00024F26
	v_cvt_pk_fp8_f32 v34, v40, v41                             // 000000005434: D2A20022 00025328
	v_cvt_pk_fp8_f32 v34, v42, v43 op_sel:[0,0,1]              // 00000000543C: D2A24022 0002572A
	v_cvt_pk_fp8_f32 v35, v44, v45                             // 000000005444: D2A20023 00025B2C
	v_cvt_pk_fp8_f32 v35, v46, v47 op_sel:[0,0,1]              // 00000000544C: D2A24023 00025F2E
	v_cvt_pk_fp8_f32 v36, v48, v49                             // 000000005454: D2A20024 00026330
	v_cvt_pk_fp8_f32 v36, v50, v51 op_sel:[0,0,1]              // 00000000545C: D2A24024 00026732
	v_cvt_pk_fp8_f32 v37, v52, v53                             // 000000005464: D2A20025 00026B34
	v_cvt_pk_fp8_f32 v37, v54, v55 op_sel:[0,0,1]              // 00000000546C: D2A24025 00026F36
	v_cvt_pk_fp8_f32 v38, v56, v57                             // 000000005474: D2A20026 00027338
	v_cvt_pk_fp8_f32 v38, v58, v59 op_sel:[0,0,1]              // 00000000547C: D2A24026 0002773A
	v_cvt_pk_fp8_f32 v39, v60, v61                             // 000000005484: D2A20027 00027B3C
	v_cvt_pk_fp8_f32 v39, v62, v63 op_sel:[0,0,1]              // 00000000548C: D2A24027 00027F3E
	v_permlane32_swap_b32_e32 v32, v34                         // 000000005494: 7E40B522
	v_permlane32_swap_b32_e32 v33, v35                         // 000000005498: 7E42B523
	v_swap_b32 v33, v34                                        // 00000000549C: 7E42A322
	v_permlane32_swap_b32_e32 v36, v38                         // 0000000054A0: 7E48B526
	v_permlane32_swap_b32_e32 v37, v39                         // 0000000054A4: 7E4AB527
	v_swap_b32 v37, v38                                        // 0000000054A8: 7E4AA326
	v_mov_b32_e32 v28, v17                                     // 0000000054AC: 7E380311
	v_mul_f32_e32 v64, v28, v64                                // 0000000054B0: 0A80811C
	v_mul_f32_e32 v65, v28, v65                                // 0000000054B4: 0A82831C
	v_mul_f32_e32 v66, v28, v66                                // 0000000054B8: 0A84851C
	v_mul_f32_e32 v67, v28, v67                                // 0000000054BC: 0A86871C
	v_mul_f32_e32 v68, v28, v68                                // 0000000054C0: 0A88891C
	v_mul_f32_e32 v69, v28, v69                                // 0000000054C4: 0A8A8B1C
	v_mul_f32_e32 v70, v28, v70                                // 0000000054C8: 0A8C8D1C
	v_mul_f32_e32 v71, v28, v71                                // 0000000054CC: 0A8E8F1C
	v_mul_f32_e32 v72, v28, v72                                // 0000000054D0: 0A90911C
	v_mul_f32_e32 v73, v28, v73                                // 0000000054D4: 0A92931C
	v_mul_f32_e32 v74, v28, v74                                // 0000000054D8: 0A94951C
	v_mul_f32_e32 v75, v28, v75                                // 0000000054DC: 0A96971C
	v_mul_f32_e32 v76, v28, v76                                // 0000000054E0: 0A98991C
	v_mul_f32_e32 v77, v28, v77                                // 0000000054E4: 0A9A9B1C
	v_mul_f32_e32 v78, v28, v78                                // 0000000054E8: 0A9C9D1C
	v_mul_f32_e32 v79, v28, v79                                // 0000000054EC: 0A9E9F1C
	v_mul_f32_e32 v80, v28, v80                                // 0000000054F0: 0AA0A11C
	v_mul_f32_e32 v81, v28, v81                                // 0000000054F4: 0AA2A31C
	v_mul_f32_e32 v82, v28, v82                                // 0000000054F8: 0AA4A51C
	v_mul_f32_e32 v83, v28, v83                                // 0000000054FC: 0AA6A71C
	v_mul_f32_e32 v84, v28, v84                                // 000000005500: 0AA8A91C
	v_mul_f32_e32 v85, v28, v85                                // 000000005504: 0AAAAB1C
	v_mul_f32_e32 v86, v28, v86                                // 000000005508: 0AACAD1C
	v_mul_f32_e32 v87, v28, v87                                // 00000000550C: 0AAEAF1C
	v_mul_f32_e32 v88, v28, v88                                // 000000005510: 0AB0B11C
	v_mul_f32_e32 v89, v28, v89                                // 000000005514: 0AB2B31C
	v_mul_f32_e32 v90, v28, v90                                // 000000005518: 0AB4B51C
	v_mul_f32_e32 v91, v28, v91                                // 00000000551C: 0AB6B71C
	v_mul_f32_e32 v92, v28, v92                                // 000000005520: 0AB8B91C
	v_mul_f32_e32 v93, v28, v93                                // 000000005524: 0ABABB1C
	v_mul_f32_e32 v94, v28, v94                                // 000000005528: 0ABCBD1C
	v_mul_f32_e32 v95, v28, v95                                // 00000000552C: 0ABEBF1C
	v_mul_f32_e32 v96, v28, v96                                // 000000005530: 0AC0C11C
	v_mul_f32_e32 v97, v28, v97                                // 000000005534: 0AC2C31C
	v_mul_f32_e32 v98, v28, v98                                // 000000005538: 0AC4C51C
	v_mul_f32_e32 v99, v28, v99                                // 00000000553C: 0AC6C71C
	v_mul_f32_e32 v100, v28, v100                              // 000000005540: 0AC8C91C
	v_mul_f32_e32 v101, v28, v101                              // 000000005544: 0ACACB1C
	v_mul_f32_e32 v102, v28, v102                              // 000000005548: 0ACCCD1C
	v_mul_f32_e32 v103, v28, v103                              // 00000000554C: 0ACECF1C
	v_mul_f32_e32 v104, v28, v104                              // 000000005550: 0AD0D11C
	v_mul_f32_e32 v105, v28, v105                              // 000000005554: 0AD2D31C
	v_mul_f32_e32 v106, v28, v106                              // 000000005558: 0AD4D51C
	v_mul_f32_e32 v107, v28, v107                              // 00000000555C: 0AD6D71C
	v_mul_f32_e32 v108, v28, v108                              // 000000005560: 0AD8D91C
	v_mul_f32_e32 v109, v28, v109                              // 000000005564: 0ADADB1C
	v_mul_f32_e32 v110, v28, v110                              // 000000005568: 0ADCDD1C
	v_mul_f32_e32 v111, v28, v111                              // 00000000556C: 0ADEDF1C
	v_mul_f32_e32 v112, v28, v112                              // 000000005570: 0AE0E11C
	v_mul_f32_e32 v113, v28, v113                              // 000000005574: 0AE2E31C
	v_mul_f32_e32 v114, v28, v114                              // 000000005578: 0AE4E51C
	v_mul_f32_e32 v115, v28, v115                              // 00000000557C: 0AE6E71C
	v_mul_f32_e32 v116, v28, v116                              // 000000005580: 0AE8E91C
	v_mul_f32_e32 v117, v28, v117                              // 000000005584: 0AEAEB1C
	v_mul_f32_e32 v118, v28, v118                              // 000000005588: 0AECED1C
	v_mul_f32_e32 v119, v28, v119                              // 00000000558C: 0AEEEF1C
	v_mul_f32_e32 v120, v28, v120                              // 000000005590: 0AF0F11C
	v_mul_f32_e32 v121, v28, v121                              // 000000005594: 0AF2F31C
	v_mul_f32_e32 v122, v28, v122                              // 000000005598: 0AF4F51C
	v_mul_f32_e32 v123, v28, v123                              // 00000000559C: 0AF6F71C
	v_mul_f32_e32 v124, v28, v124                              // 0000000055A0: 0AF8F91C
	v_mul_f32_e32 v125, v28, v125                              // 0000000055A4: 0AFAFB1C
	v_mul_f32_e32 v126, v28, v126                              // 0000000055A8: 0AFCFD1C
	v_mul_f32_e32 v127, v28, v127                              // 0000000055AC: 0AFEFF1C
	v_mul_f32_e32 v128, v28, v128                              // 0000000055B0: 0B01011C
	v_mul_f32_e32 v129, v28, v129                              // 0000000055B4: 0B03031C
	v_mul_f32_e32 v130, v28, v130                              // 0000000055B8: 0B05051C
	v_mul_f32_e32 v131, v28, v131                              // 0000000055BC: 0B07071C
	v_mul_f32_e32 v132, v28, v132                              // 0000000055C0: 0B09091C
	v_mul_f32_e32 v133, v28, v133                              // 0000000055C4: 0B0B0B1C
	v_mul_f32_e32 v134, v28, v134                              // 0000000055C8: 0B0D0D1C
	v_mul_f32_e32 v135, v28, v135                              // 0000000055CC: 0B0F0F1C
	v_mul_f32_e32 v136, v28, v136                              // 0000000055D0: 0B11111C
	v_mul_f32_e32 v137, v28, v137                              // 0000000055D4: 0B13131C
	v_mul_f32_e32 v138, v28, v138                              // 0000000055D8: 0B15151C
	v_mul_f32_e32 v139, v28, v139                              // 0000000055DC: 0B17171C
	v_mul_f32_e32 v140, v28, v140                              // 0000000055E0: 0B19191C
	v_mul_f32_e32 v141, v28, v141                              // 0000000055E4: 0B1B1B1C
	v_mul_f32_e32 v142, v28, v142                              // 0000000055E8: 0B1D1D1C
	v_mul_f32_e32 v143, v28, v143                              // 0000000055EC: 0B1F1F1C
	v_mul_f32_e32 v144, v28, v144                              // 0000000055F0: 0B21211C
	v_mul_f32_e32 v145, v28, v145                              // 0000000055F4: 0B23231C
	v_mul_f32_e32 v146, v28, v146                              // 0000000055F8: 0B25251C
	v_mul_f32_e32 v147, v28, v147                              // 0000000055FC: 0B27271C
	v_mul_f32_e32 v148, v28, v148                              // 000000005600: 0B29291C
	v_mul_f32_e32 v149, v28, v149                              // 000000005604: 0B2B2B1C
	v_mul_f32_e32 v150, v28, v150                              // 000000005608: 0B2D2D1C
	v_mul_f32_e32 v151, v28, v151                              // 00000000560C: 0B2F2F1C
	v_mul_f32_e32 v152, v28, v152                              // 000000005610: 0B31311C
	v_mul_f32_e32 v153, v28, v153                              // 000000005614: 0B33331C
	v_mul_f32_e32 v154, v28, v154                              // 000000005618: 0B35351C
	v_mul_f32_e32 v155, v28, v155                              // 00000000561C: 0B37371C
	v_mul_f32_e32 v156, v28, v156                              // 000000005620: 0B39391C
	v_mul_f32_e32 v157, v28, v157                              // 000000005624: 0B3B3B1C
	v_mul_f32_e32 v158, v28, v158                              // 000000005628: 0B3D3D1C
	v_mul_f32_e32 v159, v28, v159                              // 00000000562C: 0B3F3F1C
	v_mul_f32_e32 v160, v28, v160                              // 000000005630: 0B41411C
	v_mul_f32_e32 v161, v28, v161                              // 000000005634: 0B43431C
	v_mul_f32_e32 v162, v28, v162                              // 000000005638: 0B45451C
	v_mul_f32_e32 v163, v28, v163                              // 00000000563C: 0B47471C
	v_mul_f32_e32 v164, v28, v164                              // 000000005640: 0B49491C
	v_mul_f32_e32 v165, v28, v165                              // 000000005644: 0B4B4B1C
	v_mul_f32_e32 v166, v28, v166                              // 000000005648: 0B4D4D1C
	v_mul_f32_e32 v167, v28, v167                              // 00000000564C: 0B4F4F1C
	v_mul_f32_e32 v168, v28, v168                              // 000000005650: 0B51511C
	v_mul_f32_e32 v169, v28, v169                              // 000000005654: 0B53531C
	v_mul_f32_e32 v170, v28, v170                              // 000000005658: 0B55551C
	v_mul_f32_e32 v171, v28, v171                              // 00000000565C: 0B57571C
	v_mul_f32_e32 v172, v28, v172                              // 000000005660: 0B59591C
	v_mul_f32_e32 v173, v28, v173                              // 000000005664: 0B5B5B1C
	v_mul_f32_e32 v174, v28, v174                              // 000000005668: 0B5D5D1C
	v_mul_f32_e32 v175, v28, v175                              // 00000000566C: 0B5F5F1C
	v_mul_f32_e32 v176, v28, v176                              // 000000005670: 0B61611C
	v_mul_f32_e32 v177, v28, v177                              // 000000005674: 0B63631C
	v_mul_f32_e32 v178, v28, v178                              // 000000005678: 0B65651C
	v_mul_f32_e32 v179, v28, v179                              // 00000000567C: 0B67671C
	v_mul_f32_e32 v180, v28, v180                              // 000000005680: 0B69691C
	v_mul_f32_e32 v181, v28, v181                              // 000000005684: 0B6B6B1C
	v_mul_f32_e32 v182, v28, v182                              // 000000005688: 0B6D6D1C
	v_mul_f32_e32 v183, v28, v183                              // 00000000568C: 0B6F6F1C
	v_mul_f32_e32 v184, v28, v184                              // 000000005690: 0B71711C
	v_mul_f32_e32 v185, v28, v185                              // 000000005694: 0B73731C
	v_mul_f32_e32 v186, v28, v186                              // 000000005698: 0B75751C
	v_mul_f32_e32 v187, v28, v187                              // 00000000569C: 0B77771C
	v_mul_f32_e32 v188, v28, v188                              // 0000000056A0: 0B79791C
	v_mul_f32_e32 v189, v28, v189                              // 0000000056A4: 0B7B7B1C
	v_mul_f32_e32 v190, v28, v190                              // 0000000056A8: 0B7D7D1C
	v_mul_f32_e32 v191, v28, v191                              // 0000000056AC: 0B7F7F1C
	v_mul_f32_e32 v192, v28, v192                              // 0000000056B0: 0B81811C
	v_mul_f32_e32 v193, v28, v193                              // 0000000056B4: 0B83831C
	v_mul_f32_e32 v194, v28, v194                              // 0000000056B8: 0B85851C
	v_mul_f32_e32 v195, v28, v195                              // 0000000056BC: 0B87871C
	v_mul_f32_e32 v196, v28, v196                              // 0000000056C0: 0B89891C
	v_mul_f32_e32 v197, v28, v197                              // 0000000056C4: 0B8B8B1C
	v_mul_f32_e32 v198, v28, v198                              // 0000000056C8: 0B8D8D1C
	v_mul_f32_e32 v199, v28, v199                              // 0000000056CC: 0B8F8F1C
	v_mul_f32_e32 v200, v28, v200                              // 0000000056D0: 0B91911C
	v_mul_f32_e32 v201, v28, v201                              // 0000000056D4: 0B93931C
	v_mul_f32_e32 v202, v28, v202                              // 0000000056D8: 0B95951C
	v_mul_f32_e32 v203, v28, v203                              // 0000000056DC: 0B97971C
	v_mul_f32_e32 v204, v28, v204                              // 0000000056E0: 0B99991C
	v_mul_f32_e32 v205, v28, v205                              // 0000000056E4: 0B9B9B1C
	v_mul_f32_e32 v206, v28, v206                              // 0000000056E8: 0B9D9D1C
	v_mul_f32_e32 v207, v28, v207                              // 0000000056EC: 0B9F9F1C
	v_mul_f32_e32 v208, v28, v208                              // 0000000056F0: 0BA1A11C
	v_mul_f32_e32 v209, v28, v209                              // 0000000056F4: 0BA3A31C
	v_mul_f32_e32 v210, v28, v210                              // 0000000056F8: 0BA5A51C
	v_mul_f32_e32 v211, v28, v211                              // 0000000056FC: 0BA7A71C
	v_mul_f32_e32 v212, v28, v212                              // 000000005700: 0BA9A91C
	v_mul_f32_e32 v213, v28, v213                              // 000000005704: 0BABAB1C
	v_mul_f32_e32 v214, v28, v214                              // 000000005708: 0BADAD1C
	v_mul_f32_e32 v215, v28, v215                              // 00000000570C: 0BAFAF1C
	v_mul_f32_e32 v216, v28, v216                              // 000000005710: 0BB1B11C
	v_mul_f32_e32 v217, v28, v217                              // 000000005714: 0BB3B31C
	v_mul_f32_e32 v218, v28, v218                              // 000000005718: 0BB5B51C
	v_mul_f32_e32 v219, v28, v219                              // 00000000571C: 0BB7B71C
	v_mul_f32_e32 v220, v28, v220                              // 000000005720: 0BB9B91C
	v_mul_f32_e32 v221, v28, v221                              // 000000005724: 0BBBBB1C
	v_mul_f32_e32 v222, v28, v222                              // 000000005728: 0BBDBD1C
	v_mul_f32_e32 v223, v28, v223                              // 00000000572C: 0BBFBF1C
	v_accvgpr_read_b32 v29, a144                               // 000000005730: D3D8401D 18000190
	v_mul_f32_e32 v29, v28, v29                                // 000000005738: 0A3A3B1C
	v_accvgpr_write_b32 a144, v29                              // 00000000573C: D3D94090 1800011D
	v_accvgpr_read_b32 v29, a145                               // 000000005744: D3D8401D 18000191
	v_mul_f32_e32 v29, v28, v29                                // 00000000574C: 0A3A3B1C
	v_accvgpr_write_b32 a145, v29                              // 000000005750: D3D94091 1800011D
	v_accvgpr_read_b32 v29, a146                               // 000000005758: D3D8401D 18000192
	v_mul_f32_e32 v29, v28, v29                                // 000000005760: 0A3A3B1C
	v_accvgpr_write_b32 a146, v29                              // 000000005764: D3D94092 1800011D
	v_accvgpr_read_b32 v29, a147                               // 00000000576C: D3D8401D 18000193
	v_mul_f32_e32 v29, v28, v29                                // 000000005774: 0A3A3B1C
	v_accvgpr_write_b32 a147, v29                              // 000000005778: D3D94093 1800011D
	v_accvgpr_read_b32 v29, a148                               // 000000005780: D3D8401D 18000194
	v_mul_f32_e32 v29, v28, v29                                // 000000005788: 0A3A3B1C
	v_accvgpr_write_b32 a148, v29                              // 00000000578C: D3D94094 1800011D
	v_accvgpr_read_b32 v29, a149                               // 000000005794: D3D8401D 18000195
	v_mul_f32_e32 v29, v28, v29                                // 00000000579C: 0A3A3B1C
	v_accvgpr_write_b32 a149, v29                              // 0000000057A0: D3D94095 1800011D
	v_accvgpr_read_b32 v29, a150                               // 0000000057A8: D3D8401D 18000196
	v_mul_f32_e32 v29, v28, v29                                // 0000000057B0: 0A3A3B1C
	v_accvgpr_write_b32 a150, v29                              // 0000000057B4: D3D94096 1800011D
	v_accvgpr_read_b32 v29, a151                               // 0000000057BC: D3D8401D 18000197
	v_mul_f32_e32 v29, v28, v29                                // 0000000057C4: 0A3A3B1C
	v_accvgpr_write_b32 a151, v29                              // 0000000057C8: D3D94097 1800011D
	v_accvgpr_read_b32 v29, a152                               // 0000000057D0: D3D8401D 18000198
	v_mul_f32_e32 v29, v28, v29                                // 0000000057D8: 0A3A3B1C
	v_accvgpr_write_b32 a152, v29                              // 0000000057DC: D3D94098 1800011D
	v_accvgpr_read_b32 v29, a153                               // 0000000057E4: D3D8401D 18000199
	v_mul_f32_e32 v29, v28, v29                                // 0000000057EC: 0A3A3B1C
	v_accvgpr_write_b32 a153, v29                              // 0000000057F0: D3D94099 1800011D
	v_accvgpr_read_b32 v29, a154                               // 0000000057F8: D3D8401D 1800019A
	v_mul_f32_e32 v29, v28, v29                                // 000000005800: 0A3A3B1C
	v_accvgpr_write_b32 a154, v29                              // 000000005804: D3D9409A 1800011D
	v_accvgpr_read_b32 v29, a155                               // 00000000580C: D3D8401D 1800019B
	v_mul_f32_e32 v29, v28, v29                                // 000000005814: 0A3A3B1C
	v_accvgpr_write_b32 a155, v29                              // 000000005818: D3D9409B 1800011D
	v_accvgpr_read_b32 v29, a156                               // 000000005820: D3D8401D 1800019C
	v_mul_f32_e32 v29, v28, v29                                // 000000005828: 0A3A3B1C
	v_accvgpr_write_b32 a156, v29                              // 00000000582C: D3D9409C 1800011D
	v_accvgpr_read_b32 v29, a157                               // 000000005834: D3D8401D 1800019D
	v_mul_f32_e32 v29, v28, v29                                // 00000000583C: 0A3A3B1C
	v_accvgpr_write_b32 a157, v29                              // 000000005840: D3D9409D 1800011D
	v_accvgpr_read_b32 v29, a158                               // 000000005848: D3D8401D 1800019E
	v_mul_f32_e32 v29, v28, v29                                // 000000005850: 0A3A3B1C
	v_accvgpr_write_b32 a158, v29                              // 000000005854: D3D9409E 1800011D
	v_accvgpr_read_b32 v29, a159                               // 00000000585C: D3D8401D 1800019F
	v_mul_f32_e32 v29, v28, v29                                // 000000005864: 0A3A3B1C
	v_accvgpr_write_b32 a159, v29                              // 000000005868: D3D9409F 1800011D
	v_accvgpr_read_b32 v29, a160                               // 000000005870: D3D8401D 180001A0
	v_mul_f32_e32 v29, v28, v29                                // 000000005878: 0A3A3B1C
	v_accvgpr_write_b32 a160, v29                              // 00000000587C: D3D940A0 1800011D
	v_accvgpr_read_b32 v29, a161                               // 000000005884: D3D8401D 180001A1
	v_mul_f32_e32 v29, v28, v29                                // 00000000588C: 0A3A3B1C
	v_accvgpr_write_b32 a161, v29                              // 000000005890: D3D940A1 1800011D
	v_accvgpr_read_b32 v29, a162                               // 000000005898: D3D8401D 180001A2
	v_mul_f32_e32 v29, v28, v29                                // 0000000058A0: 0A3A3B1C
	v_accvgpr_write_b32 a162, v29                              // 0000000058A4: D3D940A2 1800011D
	v_accvgpr_read_b32 v29, a163                               // 0000000058AC: D3D8401D 180001A3
	v_mul_f32_e32 v29, v28, v29                                // 0000000058B4: 0A3A3B1C
	v_accvgpr_write_b32 a163, v29                              // 0000000058B8: D3D940A3 1800011D
	v_accvgpr_read_b32 v29, a164                               // 0000000058C0: D3D8401D 180001A4
	v_mul_f32_e32 v29, v28, v29                                // 0000000058C8: 0A3A3B1C
	v_accvgpr_write_b32 a164, v29                              // 0000000058CC: D3D940A4 1800011D
	v_accvgpr_read_b32 v29, a165                               // 0000000058D4: D3D8401D 180001A5
	v_mul_f32_e32 v29, v28, v29                                // 0000000058DC: 0A3A3B1C
	v_accvgpr_write_b32 a165, v29                              // 0000000058E0: D3D940A5 1800011D
	v_accvgpr_read_b32 v29, a166                               // 0000000058E8: D3D8401D 180001A6
	v_mul_f32_e32 v29, v28, v29                                // 0000000058F0: 0A3A3B1C
	v_accvgpr_write_b32 a166, v29                              // 0000000058F4: D3D940A6 1800011D
	v_accvgpr_read_b32 v29, a167                               // 0000000058FC: D3D8401D 180001A7
	v_mul_f32_e32 v29, v28, v29                                // 000000005904: 0A3A3B1C
	v_accvgpr_write_b32 a167, v29                              // 000000005908: D3D940A7 1800011D
	v_accvgpr_read_b32 v29, a168                               // 000000005910: D3D8401D 180001A8
	v_mul_f32_e32 v29, v28, v29                                // 000000005918: 0A3A3B1C
	v_accvgpr_write_b32 a168, v29                              // 00000000591C: D3D940A8 1800011D
	v_accvgpr_read_b32 v29, a169                               // 000000005924: D3D8401D 180001A9
	v_mul_f32_e32 v29, v28, v29                                // 00000000592C: 0A3A3B1C
	v_accvgpr_write_b32 a169, v29                              // 000000005930: D3D940A9 1800011D
	v_accvgpr_read_b32 v29, a170                               // 000000005938: D3D8401D 180001AA
	v_mul_f32_e32 v29, v28, v29                                // 000000005940: 0A3A3B1C
	v_accvgpr_write_b32 a170, v29                              // 000000005944: D3D940AA 1800011D
	v_accvgpr_read_b32 v29, a171                               // 00000000594C: D3D8401D 180001AB
	v_mul_f32_e32 v29, v28, v29                                // 000000005954: 0A3A3B1C
	v_accvgpr_write_b32 a171, v29                              // 000000005958: D3D940AB 1800011D
	v_accvgpr_read_b32 v29, a172                               // 000000005960: D3D8401D 180001AC
	v_mul_f32_e32 v29, v28, v29                                // 000000005968: 0A3A3B1C
	v_accvgpr_write_b32 a172, v29                              // 00000000596C: D3D940AC 1800011D
	v_accvgpr_read_b32 v29, a173                               // 000000005974: D3D8401D 180001AD
	v_mul_f32_e32 v29, v28, v29                                // 00000000597C: 0A3A3B1C
	v_accvgpr_write_b32 a173, v29                              // 000000005980: D3D940AD 1800011D
	v_accvgpr_read_b32 v29, a174                               // 000000005988: D3D8401D 180001AE
	v_mul_f32_e32 v29, v28, v29                                // 000000005990: 0A3A3B1C
	v_accvgpr_write_b32 a174, v29                              // 000000005994: D3D940AE 1800011D
	v_accvgpr_read_b32 v29, a175                               // 00000000599C: D3D8401D 180001AF
	v_mul_f32_e32 v29, v28, v29                                // 0000000059A4: 0A3A3B1C
	v_accvgpr_write_b32 a175, v29                              // 0000000059A8: D3D940AF 1800011D
	v_accvgpr_read_b32 v29, a176                               // 0000000059B0: D3D8401D 180001B0
	v_mul_f32_e32 v29, v28, v29                                // 0000000059B8: 0A3A3B1C
	v_accvgpr_write_b32 a176, v29                              // 0000000059BC: D3D940B0 1800011D
	v_accvgpr_read_b32 v29, a177                               // 0000000059C4: D3D8401D 180001B1
	v_mul_f32_e32 v29, v28, v29                                // 0000000059CC: 0A3A3B1C
	v_accvgpr_write_b32 a177, v29                              // 0000000059D0: D3D940B1 1800011D
	v_accvgpr_read_b32 v29, a178                               // 0000000059D8: D3D8401D 180001B2
	v_mul_f32_e32 v29, v28, v29                                // 0000000059E0: 0A3A3B1C
	v_accvgpr_write_b32 a178, v29                              // 0000000059E4: D3D940B2 1800011D
	v_accvgpr_read_b32 v29, a179                               // 0000000059EC: D3D8401D 180001B3
	v_mul_f32_e32 v29, v28, v29                                // 0000000059F4: 0A3A3B1C
	v_accvgpr_write_b32 a179, v29                              // 0000000059F8: D3D940B3 1800011D
	v_accvgpr_read_b32 v29, a180                               // 000000005A00: D3D8401D 180001B4
	v_mul_f32_e32 v29, v28, v29                                // 000000005A08: 0A3A3B1C
	v_accvgpr_write_b32 a180, v29                              // 000000005A0C: D3D940B4 1800011D
	v_accvgpr_read_b32 v29, a181                               // 000000005A14: D3D8401D 180001B5
	v_mul_f32_e32 v29, v28, v29                                // 000000005A1C: 0A3A3B1C
	v_accvgpr_write_b32 a181, v29                              // 000000005A20: D3D940B5 1800011D
	v_accvgpr_read_b32 v29, a182                               // 000000005A28: D3D8401D 180001B6
	v_mul_f32_e32 v29, v28, v29                                // 000000005A30: 0A3A3B1C
	v_accvgpr_write_b32 a182, v29                              // 000000005A34: D3D940B6 1800011D
	v_accvgpr_read_b32 v29, a183                               // 000000005A3C: D3D8401D 180001B7
	v_mul_f32_e32 v29, v28, v29                                // 000000005A44: 0A3A3B1C
	v_accvgpr_write_b32 a183, v29                              // 000000005A48: D3D940B7 1800011D
	v_accvgpr_read_b32 v29, a184                               // 000000005A50: D3D8401D 180001B8
	v_mul_f32_e32 v29, v28, v29                                // 000000005A58: 0A3A3B1C
	v_accvgpr_write_b32 a184, v29                              // 000000005A5C: D3D940B8 1800011D
	v_accvgpr_read_b32 v29, a185                               // 000000005A64: D3D8401D 180001B9
	v_mul_f32_e32 v29, v28, v29                                // 000000005A6C: 0A3A3B1C
	v_accvgpr_write_b32 a185, v29                              // 000000005A70: D3D940B9 1800011D
	v_accvgpr_read_b32 v29, a186                               // 000000005A78: D3D8401D 180001BA
	v_mul_f32_e32 v29, v28, v29                                // 000000005A80: 0A3A3B1C
	v_accvgpr_write_b32 a186, v29                              // 000000005A84: D3D940BA 1800011D
	v_accvgpr_read_b32 v29, a187                               // 000000005A8C: D3D8401D 180001BB
	v_mul_f32_e32 v29, v28, v29                                // 000000005A94: 0A3A3B1C
	v_accvgpr_write_b32 a187, v29                              // 000000005A98: D3D940BB 1800011D
	v_accvgpr_read_b32 v29, a188                               // 000000005AA0: D3D8401D 180001BC
	v_mul_f32_e32 v29, v28, v29                                // 000000005AA8: 0A3A3B1C
	v_accvgpr_write_b32 a188, v29                              // 000000005AAC: D3D940BC 1800011D
	v_accvgpr_read_b32 v29, a189                               // 000000005AB4: D3D8401D 180001BD
	v_mul_f32_e32 v29, v28, v29                                // 000000005ABC: 0A3A3B1C
	v_accvgpr_write_b32 a189, v29                              // 000000005AC0: D3D940BD 1800011D
	v_accvgpr_read_b32 v29, a190                               // 000000005AC8: D3D8401D 180001BE
	v_mul_f32_e32 v29, v28, v29                                // 000000005AD0: 0A3A3B1C
	v_accvgpr_write_b32 a190, v29                              // 000000005AD4: D3D940BE 1800011D
	v_accvgpr_read_b32 v29, a191                               // 000000005ADC: D3D8401D 180001BF
	v_mul_f32_e32 v29, v28, v29                                // 000000005AE4: 0A3A3B1C
	v_accvgpr_write_b32 a191, v29                              // 000000005AE8: D3D940BF 1800011D
	v_accvgpr_read_b32 v29, a192                               // 000000005AF0: D3D8401D 180001C0
	v_mul_f32_e32 v29, v28, v29                                // 000000005AF8: 0A3A3B1C
	v_accvgpr_write_b32 a192, v29                              // 000000005AFC: D3D940C0 1800011D
	v_accvgpr_read_b32 v29, a193                               // 000000005B04: D3D8401D 180001C1
	v_mul_f32_e32 v29, v28, v29                                // 000000005B0C: 0A3A3B1C
	v_accvgpr_write_b32 a193, v29                              // 000000005B10: D3D940C1 1800011D
	v_accvgpr_read_b32 v29, a194                               // 000000005B18: D3D8401D 180001C2
	v_mul_f32_e32 v29, v28, v29                                // 000000005B20: 0A3A3B1C
	v_accvgpr_write_b32 a194, v29                              // 000000005B24: D3D940C2 1800011D
	v_accvgpr_read_b32 v29, a195                               // 000000005B2C: D3D8401D 180001C3
	v_mul_f32_e32 v29, v28, v29                                // 000000005B34: 0A3A3B1C
	v_accvgpr_write_b32 a195, v29                              // 000000005B38: D3D940C3 1800011D
	v_accvgpr_read_b32 v29, a196                               // 000000005B40: D3D8401D 180001C4
	v_mul_f32_e32 v29, v28, v29                                // 000000005B48: 0A3A3B1C
	v_accvgpr_write_b32 a196, v29                              // 000000005B4C: D3D940C4 1800011D
	v_accvgpr_read_b32 v29, a197                               // 000000005B54: D3D8401D 180001C5
	v_mul_f32_e32 v29, v28, v29                                // 000000005B5C: 0A3A3B1C
	v_accvgpr_write_b32 a197, v29                              // 000000005B60: D3D940C5 1800011D
	v_accvgpr_read_b32 v29, a198                               // 000000005B68: D3D8401D 180001C6
	v_mul_f32_e32 v29, v28, v29                                // 000000005B70: 0A3A3B1C
	v_accvgpr_write_b32 a198, v29                              // 000000005B74: D3D940C6 1800011D
	v_accvgpr_read_b32 v29, a199                               // 000000005B7C: D3D8401D 180001C7
	v_mul_f32_e32 v29, v28, v29                                // 000000005B84: 0A3A3B1C
	v_accvgpr_write_b32 a199, v29                              // 000000005B88: D3D940C7 1800011D
	v_accvgpr_read_b32 v29, a200                               // 000000005B90: D3D8401D 180001C8
	v_mul_f32_e32 v29, v28, v29                                // 000000005B98: 0A3A3B1C
	v_accvgpr_write_b32 a200, v29                              // 000000005B9C: D3D940C8 1800011D
	v_accvgpr_read_b32 v29, a201                               // 000000005BA4: D3D8401D 180001C9
	v_mul_f32_e32 v29, v28, v29                                // 000000005BAC: 0A3A3B1C
	v_accvgpr_write_b32 a201, v29                              // 000000005BB0: D3D940C9 1800011D
	v_accvgpr_read_b32 v29, a202                               // 000000005BB8: D3D8401D 180001CA
	v_mul_f32_e32 v29, v28, v29                                // 000000005BC0: 0A3A3B1C
	v_accvgpr_write_b32 a202, v29                              // 000000005BC4: D3D940CA 1800011D
	v_accvgpr_read_b32 v29, a203                               // 000000005BCC: D3D8401D 180001CB
	v_mul_f32_e32 v29, v28, v29                                // 000000005BD4: 0A3A3B1C
	v_accvgpr_write_b32 a203, v29                              // 000000005BD8: D3D940CB 1800011D
	v_accvgpr_read_b32 v29, a204                               // 000000005BE0: D3D8401D 180001CC
	v_mul_f32_e32 v29, v28, v29                                // 000000005BE8: 0A3A3B1C
	v_accvgpr_write_b32 a204, v29                              // 000000005BEC: D3D940CC 1800011D
	v_accvgpr_read_b32 v29, a205                               // 000000005BF4: D3D8401D 180001CD
	v_mul_f32_e32 v29, v28, v29                                // 000000005BFC: 0A3A3B1C
	v_accvgpr_write_b32 a205, v29                              // 000000005C00: D3D940CD 1800011D
	v_accvgpr_read_b32 v29, a206                               // 000000005C08: D3D8401D 180001CE
	v_mul_f32_e32 v29, v28, v29                                // 000000005C10: 0A3A3B1C
	v_accvgpr_write_b32 a206, v29                              // 000000005C14: D3D940CE 1800011D
	v_accvgpr_read_b32 v29, a207                               // 000000005C1C: D3D8401D 180001CF
	v_mul_f32_e32 v29, v28, v29                                // 000000005C24: 0A3A3B1C
	v_accvgpr_write_b32 a207, v29                              // 000000005C28: D3D940CF 1800011D
	v_accvgpr_read_b32 v29, a208                               // 000000005C30: D3D8401D 180001D0
	v_mul_f32_e32 v29, v28, v29                                // 000000005C38: 0A3A3B1C
	v_accvgpr_write_b32 a208, v29                              // 000000005C3C: D3D940D0 1800011D
	v_accvgpr_read_b32 v29, a209                               // 000000005C44: D3D8401D 180001D1
	v_mul_f32_e32 v29, v28, v29                                // 000000005C4C: 0A3A3B1C
	v_accvgpr_write_b32 a209, v29                              // 000000005C50: D3D940D1 1800011D
	v_accvgpr_read_b32 v29, a210                               // 000000005C58: D3D8401D 180001D2
	v_mul_f32_e32 v29, v28, v29                                // 000000005C60: 0A3A3B1C
	v_accvgpr_write_b32 a210, v29                              // 000000005C64: D3D940D2 1800011D
	v_accvgpr_read_b32 v29, a211                               // 000000005C6C: D3D8401D 180001D3
	v_mul_f32_e32 v29, v28, v29                                // 000000005C74: 0A3A3B1C
	v_accvgpr_write_b32 a211, v29                              // 000000005C78: D3D940D3 1800011D
	v_accvgpr_read_b32 v29, a212                               // 000000005C80: D3D8401D 180001D4
	v_mul_f32_e32 v29, v28, v29                                // 000000005C88: 0A3A3B1C
	v_accvgpr_write_b32 a212, v29                              // 000000005C8C: D3D940D4 1800011D
	v_accvgpr_read_b32 v29, a213                               // 000000005C94: D3D8401D 180001D5
	v_mul_f32_e32 v29, v28, v29                                // 000000005C9C: 0A3A3B1C
	v_accvgpr_write_b32 a213, v29                              // 000000005CA0: D3D940D5 1800011D
	v_accvgpr_read_b32 v29, a214                               // 000000005CA8: D3D8401D 180001D6
	v_mul_f32_e32 v29, v28, v29                                // 000000005CB0: 0A3A3B1C
	v_accvgpr_write_b32 a214, v29                              // 000000005CB4: D3D940D6 1800011D
	v_accvgpr_read_b32 v29, a215                               // 000000005CBC: D3D8401D 180001D7
	v_mul_f32_e32 v29, v28, v29                                // 000000005CC4: 0A3A3B1C
	v_accvgpr_write_b32 a215, v29                              // 000000005CC8: D3D940D7 1800011D
	v_accvgpr_read_b32 v29, a216                               // 000000005CD0: D3D8401D 180001D8
	v_mul_f32_e32 v29, v28, v29                                // 000000005CD8: 0A3A3B1C
	v_accvgpr_write_b32 a216, v29                              // 000000005CDC: D3D940D8 1800011D
	v_accvgpr_read_b32 v29, a217                               // 000000005CE4: D3D8401D 180001D9
	v_mul_f32_e32 v29, v28, v29                                // 000000005CEC: 0A3A3B1C
	v_accvgpr_write_b32 a217, v29                              // 000000005CF0: D3D940D9 1800011D
	v_accvgpr_read_b32 v29, a218                               // 000000005CF8: D3D8401D 180001DA
	v_mul_f32_e32 v29, v28, v29                                // 000000005D00: 0A3A3B1C
	v_accvgpr_write_b32 a218, v29                              // 000000005D04: D3D940DA 1800011D
	v_accvgpr_read_b32 v29, a219                               // 000000005D0C: D3D8401D 180001DB
	v_mul_f32_e32 v29, v28, v29                                // 000000005D14: 0A3A3B1C
	v_accvgpr_write_b32 a219, v29                              // 000000005D18: D3D940DB 1800011D
	v_accvgpr_read_b32 v29, a220                               // 000000005D20: D3D8401D 180001DC
	v_mul_f32_e32 v29, v28, v29                                // 000000005D28: 0A3A3B1C
	v_accvgpr_write_b32 a220, v29                              // 000000005D2C: D3D940DC 1800011D
	v_accvgpr_read_b32 v29, a221                               // 000000005D34: D3D8401D 180001DD
	v_mul_f32_e32 v29, v28, v29                                // 000000005D3C: 0A3A3B1C
	v_accvgpr_write_b32 a221, v29                              // 000000005D40: D3D940DD 1800011D
	v_accvgpr_read_b32 v29, a222                               // 000000005D48: D3D8401D 180001DE
	v_mul_f32_e32 v29, v28, v29                                // 000000005D50: 0A3A3B1C
	v_accvgpr_write_b32 a222, v29                              // 000000005D54: D3D940DE 1800011D
	v_accvgpr_read_b32 v29, a223                               // 000000005D5C: D3D8401D 180001DF
	v_mul_f32_e32 v29, v28, v29                                // 000000005D64: 0A3A3B1C
	v_accvgpr_write_b32 a223, v29                              // 000000005D68: D3D940DF 1800011D
	v_accvgpr_read_b32 v29, a224                               // 000000005D70: D3D8401D 180001E0
	v_mul_f32_e32 v29, v28, v29                                // 000000005D78: 0A3A3B1C
	v_accvgpr_write_b32 a224, v29                              // 000000005D7C: D3D940E0 1800011D
	v_accvgpr_read_b32 v29, a225                               // 000000005D84: D3D8401D 180001E1
	v_mul_f32_e32 v29, v28, v29                                // 000000005D8C: 0A3A3B1C
	v_accvgpr_write_b32 a225, v29                              // 000000005D90: D3D940E1 1800011D
	v_accvgpr_read_b32 v29, a226                               // 000000005D98: D3D8401D 180001E2
	v_mul_f32_e32 v29, v28, v29                                // 000000005DA0: 0A3A3B1C
	v_accvgpr_write_b32 a226, v29                              // 000000005DA4: D3D940E2 1800011D
	v_accvgpr_read_b32 v29, a227                               // 000000005DAC: D3D8401D 180001E3
	v_mul_f32_e32 v29, v28, v29                                // 000000005DB4: 0A3A3B1C
	v_accvgpr_write_b32 a227, v29                              // 000000005DB8: D3D940E3 1800011D
	v_accvgpr_read_b32 v29, a228                               // 000000005DC0: D3D8401D 180001E4
	v_mul_f32_e32 v29, v28, v29                                // 000000005DC8: 0A3A3B1C
	v_accvgpr_write_b32 a228, v29                              // 000000005DCC: D3D940E4 1800011D
	v_accvgpr_read_b32 v29, a229                               // 000000005DD4: D3D8401D 180001E5
	v_mul_f32_e32 v29, v28, v29                                // 000000005DDC: 0A3A3B1C
	v_accvgpr_write_b32 a229, v29                              // 000000005DE0: D3D940E5 1800011D
	v_accvgpr_read_b32 v29, a230                               // 000000005DE8: D3D8401D 180001E6
	v_mul_f32_e32 v29, v28, v29                                // 000000005DF0: 0A3A3B1C
	v_accvgpr_write_b32 a230, v29                              // 000000005DF4: D3D940E6 1800011D
	v_accvgpr_read_b32 v29, a231                               // 000000005DFC: D3D8401D 180001E7
	v_mul_f32_e32 v29, v28, v29                                // 000000005E04: 0A3A3B1C
	v_accvgpr_write_b32 a231, v29                              // 000000005E08: D3D940E7 1800011D
	v_accvgpr_read_b32 v29, a232                               // 000000005E10: D3D8401D 180001E8
	v_mul_f32_e32 v29, v28, v29                                // 000000005E18: 0A3A3B1C
	v_accvgpr_write_b32 a232, v29                              // 000000005E1C: D3D940E8 1800011D
	v_accvgpr_read_b32 v29, a233                               // 000000005E24: D3D8401D 180001E9
	v_mul_f32_e32 v29, v28, v29                                // 000000005E2C: 0A3A3B1C
	v_accvgpr_write_b32 a233, v29                              // 000000005E30: D3D940E9 1800011D
	v_accvgpr_read_b32 v29, a234                               // 000000005E38: D3D8401D 180001EA
	v_mul_f32_e32 v29, v28, v29                                // 000000005E40: 0A3A3B1C
	v_accvgpr_write_b32 a234, v29                              // 000000005E44: D3D940EA 1800011D
	v_accvgpr_read_b32 v29, a235                               // 000000005E4C: D3D8401D 180001EB
	v_mul_f32_e32 v29, v28, v29                                // 000000005E54: 0A3A3B1C
	v_accvgpr_write_b32 a235, v29                              // 000000005E58: D3D940EB 1800011D
	v_accvgpr_read_b32 v29, a236                               // 000000005E60: D3D8401D 180001EC
	v_mul_f32_e32 v29, v28, v29                                // 000000005E68: 0A3A3B1C
	v_accvgpr_write_b32 a236, v29                              // 000000005E6C: D3D940EC 1800011D
	v_accvgpr_read_b32 v29, a237                               // 000000005E74: D3D8401D 180001ED
	v_mul_f32_e32 v29, v28, v29                                // 000000005E7C: 0A3A3B1C
	v_accvgpr_write_b32 a237, v29                              // 000000005E80: D3D940ED 1800011D
	v_accvgpr_read_b32 v29, a238                               // 000000005E88: D3D8401D 180001EE
	v_mul_f32_e32 v29, v28, v29                                // 000000005E90: 0A3A3B1C
	v_accvgpr_write_b32 a238, v29                              // 000000005E94: D3D940EE 1800011D
	v_accvgpr_read_b32 v29, a239                               // 000000005E9C: D3D8401D 180001EF
	v_mul_f32_e32 v29, v28, v29                                // 000000005EA4: 0A3A3B1C
	v_accvgpr_write_b32 a239, v29                              // 000000005EA8: D3D940EF 1800011D
	s_waitcnt lgkmcnt(0)                                       // 000000005EB0: BF8CC07F
	v_mfma_f32_32x32x64_f8f6f4 v[64:79], a[72:79], v[32:39], v[64:79]// 000000005EB4: D3AE0040 0D024148
	ds_read_b64_tr_b8 a[72:73], v13 offset:4096                // 000000005EBC: DBC41000 4800000D
	ds_read_b64_tr_b8 a[74:75], v14 offset:4096                // 000000005EC4: DBC41000 4A00000E
	ds_read_b64_tr_b8 a[76:77], v13 offset:22528               // 000000005ECC: DBC45800 4C00000D
	ds_read_b64_tr_b8 a[78:79], v14 offset:22528               // 000000005ED4: DBC45800 4E00000E
	v_mfma_f32_32x32x64_f8f6f4 v[80:95], a[80:87], v[32:39], v[80:95]// 000000005EDC: D3AE0050 0D424150
	ds_read_b64_tr_b8 a[80:81], v15 offset:4096                // 000000005EE4: DBC41000 5000000F
	ds_read_b64_tr_b8 a[82:83], v16 offset:4096                // 000000005EEC: DBC41000 52000010
	ds_read_b64_tr_b8 a[84:85], v15 offset:22528               // 000000005EF4: DBC45800 5400000F
	ds_read_b64_tr_b8 a[86:87], v16 offset:22528               // 000000005EFC: DBC45800 56000010
	v_mfma_f32_32x32x64_f8f6f4 v[96:111], a[88:95], v[32:39], v[96:111]// 000000005F04: D3AE0060 0D824158
	ds_read_b64_tr_b8 a[88:89], v13 offset:5120                // 000000005F0C: DBC41400 5800000D
	ds_read_b64_tr_b8 a[90:91], v14 offset:5120                // 000000005F14: DBC41400 5A00000E
	ds_read_b64_tr_b8 a[92:93], v13 offset:23552               // 000000005F1C: DBC45C00 5C00000D
	ds_read_b64_tr_b8 a[94:95], v14 offset:23552               // 000000005F24: DBC45C00 5E00000E
	v_mfma_f32_32x32x64_f8f6f4 v[112:127], a[96:103], v[32:39], v[112:127]// 000000005F2C: D3AE0070 0DC24160
	ds_read_b64_tr_b8 a[96:97], v15 offset:5120                // 000000005F34: DBC41400 6000000F
	ds_read_b64_tr_b8 a[98:99], v16 offset:5120                // 000000005F3C: DBC41400 62000010
	ds_read_b64_tr_b8 a[100:101], v15 offset:23552             // 000000005F44: DBC45C00 6400000F
	ds_read_b64_tr_b8 a[102:103], v16 offset:23552             // 000000005F4C: DBC45C00 66000010
	v_mfma_f32_32x32x64_f8f6f4 v[128:143], a[104:111], v[32:39], v[128:143]// 000000005F54: D3AE0080 0E024168
	ds_read_b64_tr_b8 a[104:105], v13 offset:6144              // 000000005F5C: DBC41800 6800000D
	ds_read_b64_tr_b8 a[106:107], v14 offset:6144              // 000000005F64: DBC41800 6A00000E
	ds_read_b64_tr_b8 a[108:109], v13 offset:24576             // 000000005F6C: DBC46000 6C00000D
	ds_read_b64_tr_b8 a[110:111], v14 offset:24576             // 000000005F74: DBC46000 6E00000E
	v_mfma_f32_32x32x64_f8f6f4 v[144:159], a[112:119], v[32:39], v[144:159]// 000000005F7C: D3AE0090 0E424170
	ds_read_b64_tr_b8 a[112:113], v15 offset:6144              // 000000005F84: DBC41800 7000000F
	ds_read_b64_tr_b8 a[114:115], v16 offset:6144              // 000000005F8C: DBC41800 72000010
	ds_read_b64_tr_b8 a[116:117], v15 offset:24576             // 000000005F94: DBC46000 7400000F
	ds_read_b64_tr_b8 a[118:119], v16 offset:24576             // 000000005F9C: DBC46000 76000010
	v_mfma_f32_32x32x64_f8f6f4 v[160:175], a[120:127], v[32:39], v[160:175]// 000000005FA4: D3AE00A0 0E824178
	ds_read_b64_tr_b8 a[120:121], v13 offset:7168              // 000000005FAC: DBC41C00 7800000D
	ds_read_b64_tr_b8 a[122:123], v14 offset:7168              // 000000005FB4: DBC41C00 7A00000E
	ds_read_b64_tr_b8 a[124:125], v13 offset:25600             // 000000005FBC: DBC46400 7C00000D
	ds_read_b64_tr_b8 a[126:127], v14 offset:25600             // 000000005FC4: DBC46400 7E00000E
	v_mfma_f32_32x32x64_f8f6f4 v[176:191], a[128:135], v[32:39], v[176:191]// 000000005FCC: D3AE00B0 0EC24180
	ds_read_b64_tr_b8 a[128:129], v15 offset:7168              // 000000005FD4: DBC41C00 8000000F
	ds_read_b64_tr_b8 a[130:131], v16 offset:7168              // 000000005FDC: DBC41C00 82000010
	ds_read_b64_tr_b8 a[132:133], v15 offset:25600             // 000000005FE4: DBC46400 8400000F
	ds_read_b64_tr_b8 a[134:135], v16 offset:25600             // 000000005FEC: DBC46400 86000010
	s_waitcnt lgkmcnt(0)                                       // 000000005FF4: BF8CC07F
	v_mfma_f32_32x32x64_f8f6f4 v[192:207], a[72:79], v[32:39], v[192:207]// 000000005FF8: D3AE00C0 0F024148
	v_mfma_f32_32x32x64_f8f6f4 v[208:223], a[80:87], v[32:39], v[208:223]// 000000006000: D3AE00D0 0F424150
	s_waitcnt vmcnt(10)                                        // 000000006008: BF8C0F7A
	s_barrier                                                  // 00000000600C: BF8A0000
	ds_read_b128 a[72:75], v18                                 // 000000006010: DBFE0000 48000012
	ds_read_b128 a[76:79], v19                                 // 000000006018: DBFE0000 4C000013
	v_mfma_f32_32x32x64_f8f6f4 a[144:159], a[88:95], v[32:39], a[144:159]// 000000006020: D3AE8090 0E424158
	ds_read_b128 a[80:83], v18 offset:1024                     // 000000006028: DBFE0400 50000012
	ds_read_b128 a[84:87], v19 offset:1024                     // 000000006030: DBFE0400 54000013
	v_mfma_f32_32x32x64_f8f6f4 a[160:175], a[96:103], v[32:39], a[160:175]// 000000006038: D3AE80A0 0E824160
	ds_read_b128 a[88:91], v18 offset:2048                     // 000000006040: DBFE0800 58000012
	ds_read_b128 a[92:95], v19 offset:2048                     // 000000006048: DBFE0800 5C000013
	v_mfma_f32_32x32x64_f8f6f4 a[176:191], a[104:111], v[32:39], a[176:191]// 000000006050: D3AE80B0 0EC24168
	ds_read_b128 a[96:99], v18 offset:3072                     // 000000006058: DBFE0C00 60000012
	ds_read_b128 a[100:103], v19 offset:3072                   // 000000006060: DBFE0C00 64000013
	v_mfma_f32_32x32x64_f8f6f4 a[192:207], a[112:119], v[32:39], a[192:207]// 000000006068: D3AE80C0 0F024170
	ds_read_b128 a[104:107], v18 offset:4096                   // 000000006070: DBFE1000 68000012
	ds_read_b128 a[108:111], v19 offset:4096                   // 000000006078: DBFE1000 6C000013
	v_mfma_f32_32x32x64_f8f6f4 a[208:223], a[120:127], v[32:39], a[208:223]// 000000006080: D3AE80D0 0F424178
	ds_read_b128 a[112:115], v18 offset:5120                   // 000000006088: DBFE1400 70000012
	ds_read_b128 a[116:119], v19 offset:5120                   // 000000006090: DBFE1400 74000013
	v_mfma_f32_32x32x64_f8f6f4 a[224:239], a[128:135], v[32:39], a[224:239]// 000000006098: D3AE80E0 0F824180
	ds_read_b128 a[120:123], v18 offset:6144                   // 0000000060A0: DBFE1800 78000012
	ds_read_b128 a[124:127], v19 offset:6144                   // 0000000060A8: DBFE1800 7C000013
	ds_read_b128 a[128:131], v18 offset:7168                   // 0000000060B0: DBFE1C00 80000012
	ds_read_b128 a[132:135], v19 offset:7168                   // 0000000060B8: DBFE1C00 84000013
	ds_read_b128 a[136:139], v18 offset:8192                   // 0000000060C0: DBFE2000 88000012
	ds_read_b128 a[140:143], v19 offset:8192                   // 0000000060C8: DBFE2000 8C000013
	s_addk_i32 s70, 0x1                                        // 0000000060D0: B7460001
	s_cmp_lt_i32 s70, s71                                      // 0000000060D4: BF044746
	s_cbranch_scc0 label_52C0                                  // 0000000060D8: BF840579
	s_waitcnt lgkmcnt(4)                                       // 0000000060DC: BF8CC47F
	v_mfma_f32_32x32x64_f8f6f4 v[32:47], a[72:79], a[0:7], 0   // 0000000060E0: D3AE0020 1A020148
	v_mul_u32_u24_e64 v31, v25, s68                            // 0000000060E8: D108001F 00008919
	v_add_u32_e32 v31, v31, v1                                 // 0000000060F0: 683E031F
	buffer_load_dword v24, v27, s[24:27], 0 offen              // 0000000060F4: E0501000 8006181B
	v_mfma_f32_32x32x64_f8f6f4 v[32:47], a[80:87], a[8:15], v[32:47]// 0000000060FC: D3AE0020 1C821150
	s_mov_b32 s56, 0x1d000                                     // 000000006104: BEB800FF 0001D000
	s_mul_i32 s57, s7, 0x2400                                  // 00000000610C: 9239FF07 00002400
	s_add_u32 m0, s56, s57                                     // 000000006114: 807C3938
	buffer_load_dwordx4 v31, s[20:23], 0 offen lds             // 000000006118: E05D1000 8005001F
	s_add_i32 m0, m0, 0x3c0                                    // 000000006120: 817CFF7C 000003C0
	v_mfma_f32_32x32x64_f8f6f4 v[32:47], a[88:95], a[16:23], v[32:47]// 000000006128: D3AE0020 1C822158
	ds_read_b128 a[72:75], v18 offset:18432                    // 000000006130: DBFE4800 48000012
	ds_read_b128 a[76:79], v19 offset:18432                    // 000000006138: DBFE4800 4C000013
	v_mfma_f32_32x32x64_f8f6f4 v[32:47], a[96:103], a[24:31], v[32:47]// 000000006140: D3AE0020 1C823160
	buffer_load_dwordx4 v31, s[20:23], 0 offen offset:64 lds   // 000000006148: E05D1040 8005001F
	s_add_i32 m0, m0, 0x3c0                                    // 000000006150: 817CFF7C 000003C0
	ds_read_b128 a[80:83], v18 offset:19456                    // 000000006158: DBFE4C00 50000012
	ds_read_b128 a[84:87], v19 offset:19456                    // 000000006160: DBFE4C00 54000013
	v_mfma_f32_32x32x64_f8f6f4 v[32:47], a[104:111], a[32:39], v[32:47]// 000000006168: D3AE0020 1C824168
	ds_read_b128 a[88:91], v18 offset:20480                    // 000000006170: DBFE5000 58000012
	ds_read_b128 a[92:95], v19 offset:20480                    // 000000006178: DBFE5000 5C000013
	v_mfma_f32_32x32x64_f8f6f4 v[32:47], a[112:119], a[40:47], v[32:47]// 000000006180: D3AE0020 1C825170
	buffer_load_dwordx4 v31, s[20:23], 0 offen offset:128 lds  // 000000006188: E05D1080 8005001F
	s_add_i32 m0, m0, 0x3c0                                    // 000000006190: 817CFF7C 000003C0
	ds_read_b128 a[96:99], v18 offset:21504                    // 000000006198: DBFE5400 60000012
	ds_read_b128 a[100:103], v19 offset:21504                  // 0000000061A0: DBFE5400 64000013
	v_mfma_f32_32x32x64_f8f6f4 v[32:47], a[120:127], a[48:55], v[32:47]// 0000000061A8: D3AE0020 1C826178
	ds_read_b128 a[104:107], v18 offset:22528                  // 0000000061B0: DBFE5800 68000012
	ds_read_b128 a[108:111], v19 offset:22528                  // 0000000061B8: DBFE5800 6C000013
	v_mfma_f32_32x32x64_f8f6f4 v[32:47], a[128:135], a[56:63], v[32:47]// 0000000061C0: D3AE0020 1C827180
	buffer_load_dwordx4 v31, s[20:23], 0 offen offset:192 lds  // 0000000061C8: E05D10C0 8005001F
	s_add_i32 m0, m0, 0x3c0                                    // 0000000061D0: 817CFF7C 000003C0
	ds_read_b128 a[112:115], v18 offset:23552                  // 0000000061D8: DBFE5C00 70000012
	ds_read_b128 a[116:119], v19 offset:23552                  // 0000000061E0: DBFE5C00 74000013
	v_mfma_f32_32x32x64_f8f6f4 v[32:47], a[136:143], a[64:71], v[32:47]// 0000000061E8: D3AE0020 1C828188
	ds_read_b128 a[120:123], v18 offset:24576                  // 0000000061F0: DBFE6000 78000012
	ds_read_b128 a[124:127], v19 offset:24576                  // 0000000061F8: DBFE6000 7C000013
	buffer_load_dwordx4 v31, s[20:23], 0 offen offset:256 lds  // 000000006200: E05D1100 8005001F
	s_add_i32 m0, m0, 0x3c0                                    // 000000006208: 817CFF7C 000003C0
	buffer_load_dwordx4 v31, s[20:23], 0 offen offset:320 lds  // 000000006210: E05D1140 8005001F
	s_add_i32 m0, m0, 0x3c0                                    // 000000006218: 817CFF7C 000003C0
	buffer_load_dwordx4 v31, s[20:23], 0 offen offset:384 lds  // 000000006220: E05D1180 8005001F
	s_add_i32 m0, m0, 0x3c0                                    // 000000006228: 817CFF7C 000003C0
	buffer_load_dwordx4 v31, s[20:23], 0 offen offset:448 lds  // 000000006230: E05D11C0 8005001F
	s_add_i32 m0, m0, 0x3c0                                    // 000000006238: 817CFF7C 000003C0
	buffer_load_dwordx4 v31, s[20:23], 0 offen offset:512 lds  // 000000006240: E05D1200 8005001F
	s_add_i32 m0, m0, 0x3c0                                    // 000000006248: 817CFF7C 000003C0
	ds_read_b128 a[128:131], v18 offset:25600                  // 000000006250: DBFE6400 80000012
	ds_read_b128 a[132:135], v19 offset:25600                  // 000000006258: DBFE6400 84000013
	ds_read_b128 a[136:139], v18 offset:26624                  // 000000006260: DBFE6800 88000012
	ds_read_b128 a[140:143], v19 offset:26624                  // 000000006268: DBFE6800 8C000013
	v_add_u32_e32 v27, s73, v27                                // 000000006270: 68363649
	s_waitcnt lgkmcnt(4)                                       // 000000006274: BF8CC47F
	v_mfma_f32_32x32x64_f8f6f4 v[48:63], a[72:79], a[0:7], 0   // 000000006278: D3AE0030 1A020148
	v_mfma_f32_32x32x64_f8f6f4 v[48:63], a[80:87], a[8:15], v[48:63]// 000000006280: D3AE0030 1CC21150
	v_mfma_f32_32x32x64_f8f6f4 v[48:63], a[88:95], a[16:23], v[48:63]// 000000006288: D3AE0030 1CC22158
	ds_read_b64_tr_b8 a[72:73], v5                             // 000000006290: DBC40000 48000005
	ds_read_b64_tr_b8 a[74:75], v6                             // 000000006298: DBC40000 4A000006
	ds_read_b64_tr_b8 a[76:77], v5 offset:18432                // 0000000062A0: DBC44800 4C000005
	ds_read_b64_tr_b8 a[78:79], v6 offset:18432                // 0000000062A8: DBC44800 4E000006
	v_mfma_f32_32x32x64_f8f6f4 v[48:63], a[96:103], a[24:31], v[48:63]// 0000000062B0: D3AE0030 1CC23160
	ds_read_b64_tr_b8 a[80:81], v7                             // 0000000062B8: DBC40000 50000007
	ds_read_b64_tr_b8 a[82:83], v8                             // 0000000062C0: DBC40000 52000008
	ds_read_b64_tr_b8 a[84:85], v7 offset:18432                // 0000000062C8: DBC44800 54000007
	ds_read_b64_tr_b8 a[86:87], v8 offset:18432                // 0000000062D0: DBC44800 56000008
	v_mfma_f32_32x32x64_f8f6f4 v[48:63], a[104:111], a[32:39], v[48:63]// 0000000062D8: D3AE0030 1CC24168
	ds_read_b64_tr_b8 a[88:89], v5 offset:1024                 // 0000000062E0: DBC40400 58000005
	ds_read_b64_tr_b8 a[90:91], v6 offset:1024                 // 0000000062E8: DBC40400 5A000006
	ds_read_b64_tr_b8 a[92:93], v5 offset:19456                // 0000000062F0: DBC44C00 5C000005
	ds_read_b64_tr_b8 a[94:95], v6 offset:19456                // 0000000062F8: DBC44C00 5E000006
	v_mfma_f32_32x32x64_f8f6f4 v[48:63], a[112:119], a[40:47], v[48:63]// 000000006300: D3AE0030 1CC25170
	ds_read_b64_tr_b8 a[96:97], v7 offset:1024                 // 000000006308: DBC40400 60000007
	ds_read_b64_tr_b8 a[98:99], v8 offset:1024                 // 000000006310: DBC40400 62000008
	ds_read_b64_tr_b8 a[100:101], v7 offset:19456              // 000000006318: DBC44C00 64000007
	ds_read_b64_tr_b8 a[102:103], v8 offset:19456              // 000000006320: DBC44C00 66000008
	v_mfma_f32_32x32x64_f8f6f4 v[48:63], a[120:127], a[48:55], v[48:63]// 000000006328: D3AE0030 1CC26178
	ds_read_b64_tr_b8 a[104:105], v5 offset:2048               // 000000006330: DBC40800 68000005
	ds_read_b64_tr_b8 a[106:107], v6 offset:2048               // 000000006338: DBC40800 6A000006
	ds_read_b64_tr_b8 a[108:109], v5 offset:20480              // 000000006340: DBC45000 6C000005
	ds_read_b64_tr_b8 a[110:111], v6 offset:20480              // 000000006348: DBC45000 6E000006
	v_mfma_f32_32x32x64_f8f6f4 v[48:63], a[128:135], a[56:63], v[48:63]// 000000006350: D3AE0030 1CC27180
	ds_read_b64_tr_b8 a[112:113], v7 offset:2048               // 000000006358: DBC40800 70000007
	ds_read_b64_tr_b8 a[114:115], v8 offset:2048               // 000000006360: DBC40800 72000008
	ds_read_b64_tr_b8 a[116:117], v7 offset:20480              // 000000006368: DBC45000 74000007
	ds_read_b64_tr_b8 a[118:119], v8 offset:20480              // 000000006370: DBC45000 76000008
	v_mfma_f32_32x32x64_f8f6f4 v[48:63], a[136:143], a[64:71], v[48:63]// 000000006378: D3AE0030 1CC28188
	ds_read_b64_tr_b8 a[120:121], v5 offset:3072               // 000000006380: DBC40C00 78000005
	ds_read_b64_tr_b8 a[122:123], v6 offset:3072               // 000000006388: DBC40C00 7A000006
	ds_read_b64_tr_b8 a[124:125], v5 offset:21504              // 000000006390: DBC45400 7C000005
	ds_read_b64_tr_b8 a[126:127], v6 offset:21504              // 000000006398: DBC45400 7E000006
	ds_read_b64_tr_b8 a[128:129], v7 offset:3072               // 0000000063A0: DBC40C00 80000007
	ds_read_b64_tr_b8 a[130:131], v8 offset:3072               // 0000000063A8: DBC40C00 82000008
	ds_read_b64_tr_b8 a[132:133], v7 offset:21504              // 0000000063B0: DBC45400 84000007
	ds_read_b64_tr_b8 a[134:135], v8 offset:21504              // 0000000063B8: DBC45400 86000008
	s_cmp_le_i32 s83, s82                                      // 0000000063C0: BF055253
	s_cbranch_scc1 label_4318                                  // 0000000063C4: BF8500D4
	v_mov_b32_e32 v28, s82                                     // 0000000063C8: 7E380252
	s_cmp_eq_i32 s81, 1                                        // 0000000063CC: BF008151
	s_cbranch_scc1 label_3FF4                                  // 0000000063D0: BF850008
	s_cmp_eq_i32 s81, 2                                        // 0000000063D4: BF008251
	s_cbranch_scc1 label_3FE8                                  // 0000000063D8: BF850003
	v_add_i32 v28, s7, v28                                     // 0000000063DC: D29C001C 00023807
	s_branch label_3FF4                                        // 0000000063E4: BF820003

00000000000063e8 <label_3FE8>:
	s_lshr_b32 s56, s7, 1                                      // 0000000063E8: 8F388107
	v_add_u32_e32 v28, s56, v28                                // 0000000063EC: 68383838
	s_branch label_3FF4                                        // 0000000063F0: BF820000

00000000000063f4 <label_3FF4>:
	s_sub_u32 s56, s83, 63                                     // 0000000063F4: 80B8BF53
	v_lshrrev_b32_e32 v223, 5, v0                              // 0000000063F8: 21BE0085
	v_mul_i32_i24_e32 v223, 4, v223                            // 0000000063FC: 0DBFBE84
	v_add_u32_e32 v223, s56, v223                              // 000000006400: 69BFBE38
	v_add_u32_e32 v224, 1, v223                                // 000000006404: 69C1BE81
	v_add_u32_e32 v225, 2, v223                                // 000000006408: 69C3BE82
	v_add_u32_e32 v226, 3, v223                                // 00000000640C: 69C5BE83
	v_mov_b32_e32 v31, 0xff800000                              // 000000006410: 7E3E02FF FF800000
	v_cmp_le_i32_e64 s[36:37], v223, v28                       // 000000006418: D0C30024 000239DF
	s_nop 0                                                    // 000000006420: BF800000
	v_cndmask_b32_e64 v32, v31, v32, s[36:37]                  // 000000006424: D1000020 0092411F
	v_add_u32_e32 v223, 8, v223                                // 00000000642C: 69BFBE88
	v_cmp_le_i32_e64 s[36:37], v224, v28                       // 000000006430: D0C30024 000239E0
	s_nop 0                                                    // 000000006438: BF800000
	v_cndmask_b32_e64 v33, v31, v33, s[36:37]                  // 00000000643C: D1000021 0092431F
	v_add_u32_e32 v224, 8, v224                                // 000000006444: 69C1C088
	v_cmp_le_i32_e64 s[36:37], v225, v28                       // 000000006448: D0C30024 000239E1
	s_nop 0                                                    // 000000006450: BF800000
	v_cndmask_b32_e64 v34, v31, v34, s[36:37]                  // 000000006454: D1000022 0092451F
	v_add_u32_e32 v225, 8, v225                                // 00000000645C: 69C3C288
	v_cmp_le_i32_e64 s[36:37], v226, v28                       // 000000006460: D0C30024 000239E2
	s_nop 0                                                    // 000000006468: BF800000
	v_cndmask_b32_e64 v35, v31, v35, s[36:37]                  // 00000000646C: D1000023 0092471F
	v_add_u32_e32 v226, 8, v226                                // 000000006474: 69C5C488
	v_cmp_le_i32_e64 s[36:37], v223, v28                       // 000000006478: D0C30024 000239DF
	s_nop 0                                                    // 000000006480: BF800000
	v_cndmask_b32_e64 v36, v31, v36, s[36:37]                  // 000000006484: D1000024 0092491F
	v_add_u32_e32 v223, 8, v223                                // 00000000648C: 69BFBE88
	v_cmp_le_i32_e64 s[36:37], v224, v28                       // 000000006490: D0C30024 000239E0
	s_nop 0                                                    // 000000006498: BF800000
	v_cndmask_b32_e64 v37, v31, v37, s[36:37]                  // 00000000649C: D1000025 00924B1F
	v_add_u32_e32 v224, 8, v224                                // 0000000064A4: 69C1C088
	v_cmp_le_i32_e64 s[36:37], v225, v28                       // 0000000064A8: D0C30024 000239E1
	s_nop 0                                                    // 0000000064B0: BF800000
	v_cndmask_b32_e64 v38, v31, v38, s[36:37]                  // 0000000064B4: D1000026 00924D1F
	v_add_u32_e32 v225, 8, v225                                // 0000000064BC: 69C3C288
	v_cmp_le_i32_e64 s[36:37], v226, v28                       // 0000000064C0: D0C30024 000239E2
	s_nop 0                                                    // 0000000064C8: BF800000
	v_cndmask_b32_e64 v39, v31, v39, s[36:37]                  // 0000000064CC: D1000027 00924F1F
	v_add_u32_e32 v226, 8, v226                                // 0000000064D4: 69C5C488
	v_cmp_le_i32_e64 s[36:37], v223, v28                       // 0000000064D8: D0C30024 000239DF
	s_nop 0                                                    // 0000000064E0: BF800000
	v_cndmask_b32_e64 v40, v31, v40, s[36:37]                  // 0000000064E4: D1000028 0092511F
	v_add_u32_e32 v223, 8, v223                                // 0000000064EC: 69BFBE88
	v_cmp_le_i32_e64 s[36:37], v224, v28                       // 0000000064F0: D0C30024 000239E0
	s_nop 0                                                    // 0000000064F8: BF800000
	v_cndmask_b32_e64 v41, v31, v41, s[36:37]                  // 0000000064FC: D1000029 0092531F
	v_add_u32_e32 v224, 8, v224                                // 000000006504: 69C1C088
	v_cmp_le_i32_e64 s[36:37], v225, v28                       // 000000006508: D0C30024 000239E1
	s_nop 0                                                    // 000000006510: BF800000
	v_cndmask_b32_e64 v42, v31, v42, s[36:37]                  // 000000006514: D100002A 0092551F
	v_add_u32_e32 v225, 8, v225                                // 00000000651C: 69C3C288
	v_cmp_le_i32_e64 s[36:37], v226, v28                       // 000000006520: D0C30024 000239E2
	s_nop 0                                                    // 000000006528: BF800000
	v_cndmask_b32_e64 v43, v31, v43, s[36:37]                  // 00000000652C: D100002B 0092571F
	v_add_u32_e32 v226, 8, v226                                // 000000006534: 69C5C488
	v_cmp_le_i32_e64 s[36:37], v223, v28                       // 000000006538: D0C30024 000239DF
	s_nop 0                                                    // 000000006540: BF800000
	v_cndmask_b32_e64 v44, v31, v44, s[36:37]                  // 000000006544: D100002C 0092591F
	v_add_u32_e32 v223, 8, v223                                // 00000000654C: 69BFBE88
	v_cmp_le_i32_e64 s[36:37], v224, v28                       // 000000006550: D0C30024 000239E0
	s_nop 0                                                    // 000000006558: BF800000
	v_cndmask_b32_e64 v45, v31, v45, s[36:37]                  // 00000000655C: D100002D 00925B1F
	v_add_u32_e32 v224, 8, v224                                // 000000006564: 69C1C088
	v_cmp_le_i32_e64 s[36:37], v225, v28                       // 000000006568: D0C30024 000239E1
	s_nop 0                                                    // 000000006570: BF800000
	v_cndmask_b32_e64 v46, v31, v46, s[36:37]                  // 000000006574: D100002E 00925D1F
	v_add_u32_e32 v225, 8, v225                                // 00000000657C: 69C3C288
	v_cmp_le_i32_e64 s[36:37], v226, v28                       // 000000006580: D0C30024 000239E2
	s_nop 0                                                    // 000000006588: BF800000
	v_cndmask_b32_e64 v47, v31, v47, s[36:37]                  // 00000000658C: D100002F 00925F1F
	v_add_u32_e32 v226, 8, v226                                // 000000006594: 69C5C488
	v_cmp_le_i32_e64 s[36:37], v223, v28                       // 000000006598: D0C30024 000239DF
	s_nop 0                                                    // 0000000065A0: BF800000
	v_cndmask_b32_e64 v48, v31, v48, s[36:37]                  // 0000000065A4: D1000030 0092611F
	v_add_u32_e32 v223, 8, v223                                // 0000000065AC: 69BFBE88
	v_cmp_le_i32_e64 s[36:37], v224, v28                       // 0000000065B0: D0C30024 000239E0
	s_nop 0                                                    // 0000000065B8: BF800000
	v_cndmask_b32_e64 v49, v31, v49, s[36:37]                  // 0000000065BC: D1000031 0092631F
	v_add_u32_e32 v224, 8, v224                                // 0000000065C4: 69C1C088
	v_cmp_le_i32_e64 s[36:37], v225, v28                       // 0000000065C8: D0C30024 000239E1
	s_nop 0                                                    // 0000000065D0: BF800000
	v_cndmask_b32_e64 v50, v31, v50, s[36:37]                  // 0000000065D4: D1000032 0092651F
	v_add_u32_e32 v225, 8, v225                                // 0000000065DC: 69C3C288
	v_cmp_le_i32_e64 s[36:37], v226, v28                       // 0000000065E0: D0C30024 000239E2
	s_nop 0                                                    // 0000000065E8: BF800000
	v_cndmask_b32_e64 v51, v31, v51, s[36:37]                  // 0000000065EC: D1000033 0092671F
	v_add_u32_e32 v226, 8, v226                                // 0000000065F4: 69C5C488
	v_cmp_le_i32_e64 s[36:37], v223, v28                       // 0000000065F8: D0C30024 000239DF
	s_nop 0                                                    // 000000006600: BF800000
	v_cndmask_b32_e64 v52, v31, v52, s[36:37]                  // 000000006604: D1000034 0092691F
	v_add_u32_e32 v223, 8, v223                                // 00000000660C: 69BFBE88
	v_cmp_le_i32_e64 s[36:37], v224, v28                       // 000000006610: D0C30024 000239E0
	s_nop 0                                                    // 000000006618: BF800000
	v_cndmask_b32_e64 v53, v31, v53, s[36:37]                  // 00000000661C: D1000035 00926B1F
	v_add_u32_e32 v224, 8, v224                                // 000000006624: 69C1C088
	v_cmp_le_i32_e64 s[36:37], v225, v28                       // 000000006628: D0C30024 000239E1
	s_nop 0                                                    // 000000006630: BF800000
	v_cndmask_b32_e64 v54, v31, v54, s[36:37]                  // 000000006634: D1000036 00926D1F
	v_add_u32_e32 v225, 8, v225                                // 00000000663C: 69C3C288
	v_cmp_le_i32_e64 s[36:37], v226, v28                       // 000000006640: D0C30024 000239E2
	s_nop 0                                                    // 000000006648: BF800000
	v_cndmask_b32_e64 v55, v31, v55, s[36:37]                  // 00000000664C: D1000037 00926F1F
	v_add_u32_e32 v226, 8, v226                                // 000000006654: 69C5C488
	v_cmp_le_i32_e64 s[36:37], v223, v28                       // 000000006658: D0C30024 000239DF
	s_nop 0                                                    // 000000006660: BF800000
	v_cndmask_b32_e64 v56, v31, v56, s[36:37]                  // 000000006664: D1000038 0092711F
	v_add_u32_e32 v223, 8, v223                                // 00000000666C: 69BFBE88
	v_cmp_le_i32_e64 s[36:37], v224, v28                       // 000000006670: D0C30024 000239E0
	s_nop 0                                                    // 000000006678: BF800000
	v_cndmask_b32_e64 v57, v31, v57, s[36:37]                  // 00000000667C: D1000039 0092731F
	v_add_u32_e32 v224, 8, v224                                // 000000006684: 69C1C088
	v_cmp_le_i32_e64 s[36:37], v225, v28                       // 000000006688: D0C30024 000239E1
	s_nop 0                                                    // 000000006690: BF800000
	v_cndmask_b32_e64 v58, v31, v58, s[36:37]                  // 000000006694: D100003A 0092751F
	v_add_u32_e32 v225, 8, v225                                // 00000000669C: 69C3C288
	v_cmp_le_i32_e64 s[36:37], v226, v28                       // 0000000066A0: D0C30024 000239E2
	s_nop 0                                                    // 0000000066A8: BF800000
	v_cndmask_b32_e64 v59, v31, v59, s[36:37]                  // 0000000066AC: D100003B 0092771F
	v_add_u32_e32 v226, 8, v226                                // 0000000066B4: 69C5C488
	v_cmp_le_i32_e64 s[36:37], v223, v28                       // 0000000066B8: D0C30024 000239DF
	s_nop 0                                                    // 0000000066C0: BF800000
	v_cndmask_b32_e64 v60, v31, v60, s[36:37]                  // 0000000066C4: D100003C 0092791F
	v_add_u32_e32 v223, 8, v223                                // 0000000066CC: 69BFBE88
	v_cmp_le_i32_e64 s[36:37], v224, v28                       // 0000000066D0: D0C30024 000239E0
	s_nop 0                                                    // 0000000066D8: BF800000
	v_cndmask_b32_e64 v61, v31, v61, s[36:37]                  // 0000000066DC: D100003D 00927B1F
	v_add_u32_e32 v224, 8, v224                                // 0000000066E4: 69C1C088
	v_cmp_le_i32_e64 s[36:37], v225, v28                       // 0000000066E8: D0C30024 000239E1
	s_nop 0                                                    // 0000000066F0: BF800000
	v_cndmask_b32_e64 v62, v31, v62, s[36:37]                  // 0000000066F4: D100003E 00927D1F
	v_add_u32_e32 v225, 8, v225                                // 0000000066FC: 69C3C288
	v_cmp_le_i32_e64 s[36:37], v226, v28                       // 000000006700: D0C30024 000239E2
	s_nop 0                                                    // 000000006708: BF800000
	v_cndmask_b32_e64 v63, v31, v63, s[36:37]                  // 00000000670C: D100003F 00927F1F
	v_add_u32_e32 v226, 8, v226                                // 000000006714: 69C5C488

0000000000006718 <label_4318>:
	s_add_u32 s83, s84, s83                                    // 000000006718: 80535354
	s_nop 2                                                    // 00000000671C: BF800002
	v_mov_b32_e32 v29, v32                                     // 000000006720: 7E3A0320
	v_max3_f32 v29, v32, v33, v29                              // 000000006724: D1D3001D 04764320
	v_max3_f32 v29, v34, v35, v29                              // 00000000672C: D1D3001D 04764722
	v_max3_f32 v29, v36, v37, v29                              // 000000006734: D1D3001D 04764B24
	v_max3_f32 v29, v38, v39, v29                              // 00000000673C: D1D3001D 04764F26
	v_max3_f32 v29, v40, v41, v29                              // 000000006744: D1D3001D 04765328
	v_max3_f32 v29, v42, v43, v29                              // 00000000674C: D1D3001D 0476572A
	v_max3_f32 v29, v44, v45, v29                              // 000000006754: D1D3001D 04765B2C
	v_max3_f32 v29, v46, v47, v29                              // 00000000675C: D1D3001D 04765F2E
	v_max3_f32 v29, v48, v49, v29                              // 000000006764: D1D3001D 04766330
	v_max3_f32 v29, v50, v51, v29                              // 00000000676C: D1D3001D 04766732
	v_max3_f32 v29, v52, v53, v29                              // 000000006774: D1D3001D 04766B34
	v_max3_f32 v29, v54, v55, v29                              // 00000000677C: D1D3001D 04766F36
	v_max3_f32 v29, v56, v57, v29                              // 000000006784: D1D3001D 04767338
	v_max3_f32 v29, v58, v59, v29                              // 00000000678C: D1D3001D 0476773A
	v_max3_f32 v29, v60, v61, v29                              // 000000006794: D1D3001D 04767B3C
	v_max3_f32 v29, v62, v63, v29                              // 00000000679C: D1D3001D 04767F3E
	v_mov_b32_e32 v28, v29                                     // 0000000067A4: 7E38031D
	v_mov_b32_e32 v29, v29                                     // 0000000067A8: 7E3A031D
	s_nop 1                                                    // 0000000067AC: BF800001
	v_permlane32_swap_b32_e32 v28, v29                         // 0000000067B0: 7E38B51D
	v_max3_f32 v29, v28, v29, v29                              // 0000000067B4: D1D3001D 04763B1C
	v_mov_b32_e32 v28, 0xff800000                              // 0000000067BC: 7E3802FF FF800000
	v_cmp_eq_u32_e64 s[36:37], v28, v2                         // 0000000067C4: D0CA0024 0002051C
	v_max_f32_e32 v29, v29, v2                                 // 0000000067CC: 163A051D
	v_sub_f32_e32 v17, v2, v29                                 // 0000000067D0: 04223B02
	v_cndmask_b32_e64 v17, v17, 0, s[36:37]                    // 0000000067D4: D1000011 00910111
	v_mov_b32_e32 v2, v29                                      // 0000000067DC: 7E04031D
	v_mul_f32_e32 v29, s5, v29                                 // 0000000067E0: 0A3A3A05
	v_mul_f32_e32 v17, s5, v17                                 // 0000000067E4: 0A222205
	v_exp_f32_e32 v17, v17                                     // 0000000067E8: 7E224111
	v_fma_f32 v32, v32, s5, -v29                               // 0000000067EC: D1CB0020 84740B20
	v_fma_f32 v33, v33, s5, -v29                               // 0000000067F4: D1CB0021 84740B21
	v_fma_f32 v34, v34, s5, -v29                               // 0000000067FC: D1CB0022 84740B22
	v_fma_f32 v35, v35, s5, -v29                               // 000000006804: D1CB0023 84740B23
	v_fma_f32 v36, v36, s5, -v29                               // 00000000680C: D1CB0024 84740B24
	v_fma_f32 v37, v37, s5, -v29                               // 000000006814: D1CB0025 84740B25
	v_fma_f32 v38, v38, s5, -v29                               // 00000000681C: D1CB0026 84740B26
	v_fma_f32 v39, v39, s5, -v29                               // 000000006824: D1CB0027 84740B27
	v_fma_f32 v40, v40, s5, -v29                               // 00000000682C: D1CB0028 84740B28
	v_fma_f32 v41, v41, s5, -v29                               // 000000006834: D1CB0029 84740B29
	v_fma_f32 v42, v42, s5, -v29                               // 00000000683C: D1CB002A 84740B2A
	v_fma_f32 v43, v43, s5, -v29                               // 000000006844: D1CB002B 84740B2B
	v_fma_f32 v44, v44, s5, -v29                               // 00000000684C: D1CB002C 84740B2C
	v_fma_f32 v45, v45, s5, -v29                               // 000000006854: D1CB002D 84740B2D
	v_fma_f32 v46, v46, s5, -v29                               // 00000000685C: D1CB002E 84740B2E
	v_fma_f32 v47, v47, s5, -v29                               // 000000006864: D1CB002F 84740B2F
	v_fma_f32 v48, v48, s5, -v29                               // 00000000686C: D1CB0030 84740B30
	v_fma_f32 v49, v49, s5, -v29                               // 000000006874: D1CB0031 84740B31
	v_fma_f32 v50, v50, s5, -v29                               // 00000000687C: D1CB0032 84740B32
	v_fma_f32 v51, v51, s5, -v29                               // 000000006884: D1CB0033 84740B33
	v_fma_f32 v52, v52, s5, -v29                               // 00000000688C: D1CB0034 84740B34
	v_fma_f32 v53, v53, s5, -v29                               // 000000006894: D1CB0035 84740B35
	v_fma_f32 v54, v54, s5, -v29                               // 00000000689C: D1CB0036 84740B36
	v_fma_f32 v55, v55, s5, -v29                               // 0000000068A4: D1CB0037 84740B37
	v_fma_f32 v56, v56, s5, -v29                               // 0000000068AC: D1CB0038 84740B38
	v_fma_f32 v57, v57, s5, -v29                               // 0000000068B4: D1CB0039 84740B39
	v_fma_f32 v58, v58, s5, -v29                               // 0000000068BC: D1CB003A 84740B3A
	v_fma_f32 v59, v59, s5, -v29                               // 0000000068C4: D1CB003B 84740B3B
	v_fma_f32 v60, v60, s5, -v29                               // 0000000068CC: D1CB003C 84740B3C
	v_fma_f32 v61, v61, s5, -v29                               // 0000000068D4: D1CB003D 84740B3D
	v_fma_f32 v62, v62, s5, -v29                               // 0000000068DC: D1CB003E 84740B3E
	v_fma_f32 v63, v63, s5, -v29                               // 0000000068E4: D1CB003F 84740B3F
	v_exp_f32_e32 v32, v32                                     // 0000000068EC: 7E404120
	v_exp_f32_e32 v33, v33                                     // 0000000068F0: 7E424121
	v_exp_f32_e32 v34, v34                                     // 0000000068F4: 7E444122
	v_exp_f32_e32 v35, v35                                     // 0000000068F8: 7E464123
	v_exp_f32_e32 v36, v36                                     // 0000000068FC: 7E484124
	v_exp_f32_e32 v37, v37                                     // 000000006900: 7E4A4125
	v_exp_f32_e32 v38, v38                                     // 000000006904: 7E4C4126
	v_exp_f32_e32 v39, v39                                     // 000000006908: 7E4E4127
	v_exp_f32_e32 v40, v40                                     // 00000000690C: 7E504128
	v_exp_f32_e32 v41, v41                                     // 000000006910: 7E524129
	v_exp_f32_e32 v42, v42                                     // 000000006914: 7E54412A
	v_exp_f32_e32 v43, v43                                     // 000000006918: 7E56412B
	v_exp_f32_e32 v44, v44                                     // 00000000691C: 7E58412C
	v_exp_f32_e32 v45, v45                                     // 000000006920: 7E5A412D
	v_exp_f32_e32 v46, v46                                     // 000000006924: 7E5C412E
	v_exp_f32_e32 v47, v47                                     // 000000006928: 7E5E412F
	v_exp_f32_e32 v48, v48                                     // 00000000692C: 7E604130
	v_exp_f32_e32 v49, v49                                     // 000000006930: 7E624131
	v_exp_f32_e32 v50, v50                                     // 000000006934: 7E644132
	v_exp_f32_e32 v51, v51                                     // 000000006938: 7E664133
	v_exp_f32_e32 v52, v52                                     // 00000000693C: 7E684134
	v_exp_f32_e32 v53, v53                                     // 000000006940: 7E6A4135
	v_exp_f32_e32 v54, v54                                     // 000000006944: 7E6C4136
	v_exp_f32_e32 v55, v55                                     // 000000006948: 7E6E4137
	v_exp_f32_e32 v56, v56                                     // 00000000694C: 7E704138
	v_exp_f32_e32 v57, v57                                     // 000000006950: 7E724139
	v_exp_f32_e32 v58, v58                                     // 000000006954: 7E74413A
	v_exp_f32_e32 v59, v59                                     // 000000006958: 7E76413B
	v_exp_f32_e32 v60, v60                                     // 00000000695C: 7E78413C
	v_exp_f32_e32 v61, v61                                     // 000000006960: 7E7A413D
	v_exp_f32_e32 v62, v62                                     // 000000006964: 7E7C413E
	v_exp_f32_e32 v63, v63                                     // 000000006968: 7E7E413F
	v_mul_f32_e32 v4, v17, v4                                  // 00000000696C: 0A080911
	v_mov_b32_e32 v28, v32                                     // 000000006970: 7E380320
	v_add_f32_e32 v28, v33, v28                                // 000000006974: 02383921
	v_add_f32_e32 v28, v34, v28                                // 000000006978: 02383922
	v_add_f32_e32 v28, v35, v28                                // 00000000697C: 02383923
	v_add_f32_e32 v28, v36, v28                                // 000000006980: 02383924
	v_add_f32_e32 v28, v37, v28                                // 000000006984: 02383925
	;; [unrolled: 1-line block ×3, first 2 shown]
	v_add_f32_e32 v28, v39, v28                                // 00000000698C: 02383927
	v_add_f32_e32 v28, v40, v28                                // 000000006990: 02383928
	v_add_f32_e32 v28, v41, v28                                // 000000006994: 02383929
	v_add_f32_e32 v28, v42, v28                                // 000000006998: 0238392A
	v_add_f32_e32 v28, v43, v28                                // 00000000699C: 0238392B
	v_add_f32_e32 v28, v44, v28                                // 0000000069A0: 0238392C
	v_add_f32_e32 v28, v45, v28                                // 0000000069A4: 0238392D
	v_add_f32_e32 v28, v46, v28                                // 0000000069A8: 0238392E
	v_add_f32_e32 v28, v47, v28                                // 0000000069AC: 0238392F
	v_add_f32_e32 v28, v48, v28                                // 0000000069B0: 02383930
	v_add_f32_e32 v28, v49, v28                                // 0000000069B4: 02383931
	v_add_f32_e32 v28, v50, v28                                // 0000000069B8: 02383932
	v_add_f32_e32 v28, v51, v28                                // 0000000069BC: 02383933
	v_add_f32_e32 v28, v52, v28                                // 0000000069C0: 02383934
	v_add_f32_e32 v28, v53, v28                                // 0000000069C4: 02383935
	v_add_f32_e32 v28, v54, v28                                // 0000000069C8: 02383936
	v_add_f32_e32 v28, v55, v28                                // 0000000069CC: 02383937
	v_add_f32_e32 v28, v56, v28                                // 0000000069D0: 02383938
	v_add_f32_e32 v28, v57, v28                                // 0000000069D4: 02383939
	v_add_f32_e32 v28, v58, v28                                // 0000000069D8: 0238393A
	v_add_f32_e32 v28, v59, v28                                // 0000000069DC: 0238393B
	v_add_f32_e32 v28, v60, v28                                // 0000000069E0: 0238393C
	v_add_f32_e32 v28, v61, v28                                // 0000000069E4: 0238393D
	v_add_f32_e32 v28, v62, v28                                // 0000000069E8: 0238393E
	v_add_f32_e32 v28, v63, v28                                // 0000000069EC: 0238393F
	v_add_f32_e32 v4, v28, v4                                  // 0000000069F0: 0208091C
	v_cvt_pk_fp8_f32 v32, v32, v33                             // 0000000069F4: D2A20020 00024320
	v_cvt_pk_fp8_f32 v32, v34, v35 op_sel:[0,0,1]              // 0000000069FC: D2A24020 00024722
	v_cvt_pk_fp8_f32 v33, v36, v37                             // 000000006A04: D2A20021 00024B24
	v_cvt_pk_fp8_f32 v33, v38, v39 op_sel:[0,0,1]              // 000000006A0C: D2A24021 00024F26
	v_cvt_pk_fp8_f32 v34, v40, v41                             // 000000006A14: D2A20022 00025328
	v_cvt_pk_fp8_f32 v34, v42, v43 op_sel:[0,0,1]              // 000000006A1C: D2A24022 0002572A
	v_cvt_pk_fp8_f32 v35, v44, v45                             // 000000006A24: D2A20023 00025B2C
	v_cvt_pk_fp8_f32 v35, v46, v47 op_sel:[0,0,1]              // 000000006A2C: D2A24023 00025F2E
	v_cvt_pk_fp8_f32 v36, v48, v49                             // 000000006A34: D2A20024 00026330
	v_cvt_pk_fp8_f32 v36, v50, v51 op_sel:[0,0,1]              // 000000006A3C: D2A24024 00026732
	v_cvt_pk_fp8_f32 v37, v52, v53                             // 000000006A44: D2A20025 00026B34
	v_cvt_pk_fp8_f32 v37, v54, v55 op_sel:[0,0,1]              // 000000006A4C: D2A24025 00026F36
	v_cvt_pk_fp8_f32 v38, v56, v57                             // 000000006A54: D2A20026 00027338
	v_cvt_pk_fp8_f32 v38, v58, v59 op_sel:[0,0,1]              // 000000006A5C: D2A24026 0002773A
	v_cvt_pk_fp8_f32 v39, v60, v61                             // 000000006A64: D2A20027 00027B3C
	v_cvt_pk_fp8_f32 v39, v62, v63 op_sel:[0,0,1]              // 000000006A6C: D2A24027 00027F3E
	v_permlane32_swap_b32_e32 v32, v34                         // 000000006A74: 7E40B522
	v_permlane32_swap_b32_e32 v33, v35                         // 000000006A78: 7E42B523
	v_swap_b32 v33, v34                                        // 000000006A7C: 7E42A322
	v_permlane32_swap_b32_e32 v36, v38                         // 000000006A80: 7E48B526
	v_permlane32_swap_b32_e32 v37, v39                         // 000000006A84: 7E4AB527
	v_swap_b32 v37, v38                                        // 000000006A88: 7E4AA326
	v_mov_b32_e32 v28, v17                                     // 000000006A8C: 7E380311
	v_mul_f32_e32 v64, v28, v64                                // 000000006A90: 0A80811C
	v_mul_f32_e32 v65, v28, v65                                // 000000006A94: 0A82831C
	v_mul_f32_e32 v66, v28, v66                                // 000000006A98: 0A84851C
	v_mul_f32_e32 v67, v28, v67                                // 000000006A9C: 0A86871C
	v_mul_f32_e32 v68, v28, v68                                // 000000006AA0: 0A88891C
	v_mul_f32_e32 v69, v28, v69                                // 000000006AA4: 0A8A8B1C
	v_mul_f32_e32 v70, v28, v70                                // 000000006AA8: 0A8C8D1C
	v_mul_f32_e32 v71, v28, v71                                // 000000006AAC: 0A8E8F1C
	v_mul_f32_e32 v72, v28, v72                                // 000000006AB0: 0A90911C
	v_mul_f32_e32 v73, v28, v73                                // 000000006AB4: 0A92931C
	v_mul_f32_e32 v74, v28, v74                                // 000000006AB8: 0A94951C
	v_mul_f32_e32 v75, v28, v75                                // 000000006ABC: 0A96971C
	v_mul_f32_e32 v76, v28, v76                                // 000000006AC0: 0A98991C
	v_mul_f32_e32 v77, v28, v77                                // 000000006AC4: 0A9A9B1C
	v_mul_f32_e32 v78, v28, v78                                // 000000006AC8: 0A9C9D1C
	v_mul_f32_e32 v79, v28, v79                                // 000000006ACC: 0A9E9F1C
	v_mul_f32_e32 v80, v28, v80                                // 000000006AD0: 0AA0A11C
	v_mul_f32_e32 v81, v28, v81                                // 000000006AD4: 0AA2A31C
	v_mul_f32_e32 v82, v28, v82                                // 000000006AD8: 0AA4A51C
	v_mul_f32_e32 v83, v28, v83                                // 000000006ADC: 0AA6A71C
	v_mul_f32_e32 v84, v28, v84                                // 000000006AE0: 0AA8A91C
	v_mul_f32_e32 v85, v28, v85                                // 000000006AE4: 0AAAAB1C
	v_mul_f32_e32 v86, v28, v86                                // 000000006AE8: 0AACAD1C
	v_mul_f32_e32 v87, v28, v87                                // 000000006AEC: 0AAEAF1C
	v_mul_f32_e32 v88, v28, v88                                // 000000006AF0: 0AB0B11C
	v_mul_f32_e32 v89, v28, v89                                // 000000006AF4: 0AB2B31C
	v_mul_f32_e32 v90, v28, v90                                // 000000006AF8: 0AB4B51C
	v_mul_f32_e32 v91, v28, v91                                // 000000006AFC: 0AB6B71C
	v_mul_f32_e32 v92, v28, v92                                // 000000006B00: 0AB8B91C
	v_mul_f32_e32 v93, v28, v93                                // 000000006B04: 0ABABB1C
	v_mul_f32_e32 v94, v28, v94                                // 000000006B08: 0ABCBD1C
	v_mul_f32_e32 v95, v28, v95                                // 000000006B0C: 0ABEBF1C
	v_mul_f32_e32 v96, v28, v96                                // 000000006B10: 0AC0C11C
	v_mul_f32_e32 v97, v28, v97                                // 000000006B14: 0AC2C31C
	v_mul_f32_e32 v98, v28, v98                                // 000000006B18: 0AC4C51C
	v_mul_f32_e32 v99, v28, v99                                // 000000006B1C: 0AC6C71C
	v_mul_f32_e32 v100, v28, v100                              // 000000006B20: 0AC8C91C
	v_mul_f32_e32 v101, v28, v101                              // 000000006B24: 0ACACB1C
	v_mul_f32_e32 v102, v28, v102                              // 000000006B28: 0ACCCD1C
	v_mul_f32_e32 v103, v28, v103                              // 000000006B2C: 0ACECF1C
	v_mul_f32_e32 v104, v28, v104                              // 000000006B30: 0AD0D11C
	v_mul_f32_e32 v105, v28, v105                              // 000000006B34: 0AD2D31C
	v_mul_f32_e32 v106, v28, v106                              // 000000006B38: 0AD4D51C
	v_mul_f32_e32 v107, v28, v107                              // 000000006B3C: 0AD6D71C
	v_mul_f32_e32 v108, v28, v108                              // 000000006B40: 0AD8D91C
	v_mul_f32_e32 v109, v28, v109                              // 000000006B44: 0ADADB1C
	v_mul_f32_e32 v110, v28, v110                              // 000000006B48: 0ADCDD1C
	v_mul_f32_e32 v111, v28, v111                              // 000000006B4C: 0ADEDF1C
	v_mul_f32_e32 v112, v28, v112                              // 000000006B50: 0AE0E11C
	v_mul_f32_e32 v113, v28, v113                              // 000000006B54: 0AE2E31C
	v_mul_f32_e32 v114, v28, v114                              // 000000006B58: 0AE4E51C
	v_mul_f32_e32 v115, v28, v115                              // 000000006B5C: 0AE6E71C
	v_mul_f32_e32 v116, v28, v116                              // 000000006B60: 0AE8E91C
	v_mul_f32_e32 v117, v28, v117                              // 000000006B64: 0AEAEB1C
	v_mul_f32_e32 v118, v28, v118                              // 000000006B68: 0AECED1C
	v_mul_f32_e32 v119, v28, v119                              // 000000006B6C: 0AEEEF1C
	v_mul_f32_e32 v120, v28, v120                              // 000000006B70: 0AF0F11C
	v_mul_f32_e32 v121, v28, v121                              // 000000006B74: 0AF2F31C
	v_mul_f32_e32 v122, v28, v122                              // 000000006B78: 0AF4F51C
	v_mul_f32_e32 v123, v28, v123                              // 000000006B7C: 0AF6F71C
	v_mul_f32_e32 v124, v28, v124                              // 000000006B80: 0AF8F91C
	v_mul_f32_e32 v125, v28, v125                              // 000000006B84: 0AFAFB1C
	v_mul_f32_e32 v126, v28, v126                              // 000000006B88: 0AFCFD1C
	v_mul_f32_e32 v127, v28, v127                              // 000000006B8C: 0AFEFF1C
	v_mul_f32_e32 v128, v28, v128                              // 000000006B90: 0B01011C
	v_mul_f32_e32 v129, v28, v129                              // 000000006B94: 0B03031C
	v_mul_f32_e32 v130, v28, v130                              // 000000006B98: 0B05051C
	v_mul_f32_e32 v131, v28, v131                              // 000000006B9C: 0B07071C
	v_mul_f32_e32 v132, v28, v132                              // 000000006BA0: 0B09091C
	v_mul_f32_e32 v133, v28, v133                              // 000000006BA4: 0B0B0B1C
	v_mul_f32_e32 v134, v28, v134                              // 000000006BA8: 0B0D0D1C
	v_mul_f32_e32 v135, v28, v135                              // 000000006BAC: 0B0F0F1C
	v_mul_f32_e32 v136, v28, v136                              // 000000006BB0: 0B11111C
	v_mul_f32_e32 v137, v28, v137                              // 000000006BB4: 0B13131C
	v_mul_f32_e32 v138, v28, v138                              // 000000006BB8: 0B15151C
	v_mul_f32_e32 v139, v28, v139                              // 000000006BBC: 0B17171C
	v_mul_f32_e32 v140, v28, v140                              // 000000006BC0: 0B19191C
	v_mul_f32_e32 v141, v28, v141                              // 000000006BC4: 0B1B1B1C
	v_mul_f32_e32 v142, v28, v142                              // 000000006BC8: 0B1D1D1C
	v_mul_f32_e32 v143, v28, v143                              // 000000006BCC: 0B1F1F1C
	v_mul_f32_e32 v144, v28, v144                              // 000000006BD0: 0B21211C
	v_mul_f32_e32 v145, v28, v145                              // 000000006BD4: 0B23231C
	v_mul_f32_e32 v146, v28, v146                              // 000000006BD8: 0B25251C
	v_mul_f32_e32 v147, v28, v147                              // 000000006BDC: 0B27271C
	v_mul_f32_e32 v148, v28, v148                              // 000000006BE0: 0B29291C
	v_mul_f32_e32 v149, v28, v149                              // 000000006BE4: 0B2B2B1C
	v_mul_f32_e32 v150, v28, v150                              // 000000006BE8: 0B2D2D1C
	v_mul_f32_e32 v151, v28, v151                              // 000000006BEC: 0B2F2F1C
	v_mul_f32_e32 v152, v28, v152                              // 000000006BF0: 0B31311C
	v_mul_f32_e32 v153, v28, v153                              // 000000006BF4: 0B33331C
	v_mul_f32_e32 v154, v28, v154                              // 000000006BF8: 0B35351C
	v_mul_f32_e32 v155, v28, v155                              // 000000006BFC: 0B37371C
	v_mul_f32_e32 v156, v28, v156                              // 000000006C00: 0B39391C
	v_mul_f32_e32 v157, v28, v157                              // 000000006C04: 0B3B3B1C
	v_mul_f32_e32 v158, v28, v158                              // 000000006C08: 0B3D3D1C
	v_mul_f32_e32 v159, v28, v159                              // 000000006C0C: 0B3F3F1C
	v_mul_f32_e32 v160, v28, v160                              // 000000006C10: 0B41411C
	v_mul_f32_e32 v161, v28, v161                              // 000000006C14: 0B43431C
	v_mul_f32_e32 v162, v28, v162                              // 000000006C18: 0B45451C
	v_mul_f32_e32 v163, v28, v163                              // 000000006C1C: 0B47471C
	v_mul_f32_e32 v164, v28, v164                              // 000000006C20: 0B49491C
	v_mul_f32_e32 v165, v28, v165                              // 000000006C24: 0B4B4B1C
	v_mul_f32_e32 v166, v28, v166                              // 000000006C28: 0B4D4D1C
	v_mul_f32_e32 v167, v28, v167                              // 000000006C2C: 0B4F4F1C
	v_mul_f32_e32 v168, v28, v168                              // 000000006C30: 0B51511C
	v_mul_f32_e32 v169, v28, v169                              // 000000006C34: 0B53531C
	v_mul_f32_e32 v170, v28, v170                              // 000000006C38: 0B55551C
	v_mul_f32_e32 v171, v28, v171                              // 000000006C3C: 0B57571C
	v_mul_f32_e32 v172, v28, v172                              // 000000006C40: 0B59591C
	v_mul_f32_e32 v173, v28, v173                              // 000000006C44: 0B5B5B1C
	v_mul_f32_e32 v174, v28, v174                              // 000000006C48: 0B5D5D1C
	v_mul_f32_e32 v175, v28, v175                              // 000000006C4C: 0B5F5F1C
	v_mul_f32_e32 v176, v28, v176                              // 000000006C50: 0B61611C
	v_mul_f32_e32 v177, v28, v177                              // 000000006C54: 0B63631C
	v_mul_f32_e32 v178, v28, v178                              // 000000006C58: 0B65651C
	v_mul_f32_e32 v179, v28, v179                              // 000000006C5C: 0B67671C
	v_mul_f32_e32 v180, v28, v180                              // 000000006C60: 0B69691C
	v_mul_f32_e32 v181, v28, v181                              // 000000006C64: 0B6B6B1C
	v_mul_f32_e32 v182, v28, v182                              // 000000006C68: 0B6D6D1C
	v_mul_f32_e32 v183, v28, v183                              // 000000006C6C: 0B6F6F1C
	v_mul_f32_e32 v184, v28, v184                              // 000000006C70: 0B71711C
	v_mul_f32_e32 v185, v28, v185                              // 000000006C74: 0B73731C
	v_mul_f32_e32 v186, v28, v186                              // 000000006C78: 0B75751C
	v_mul_f32_e32 v187, v28, v187                              // 000000006C7C: 0B77771C
	v_mul_f32_e32 v188, v28, v188                              // 000000006C80: 0B79791C
	v_mul_f32_e32 v189, v28, v189                              // 000000006C84: 0B7B7B1C
	v_mul_f32_e32 v190, v28, v190                              // 000000006C88: 0B7D7D1C
	v_mul_f32_e32 v191, v28, v191                              // 000000006C8C: 0B7F7F1C
	v_mul_f32_e32 v192, v28, v192                              // 000000006C90: 0B81811C
	v_mul_f32_e32 v193, v28, v193                              // 000000006C94: 0B83831C
	v_mul_f32_e32 v194, v28, v194                              // 000000006C98: 0B85851C
	v_mul_f32_e32 v195, v28, v195                              // 000000006C9C: 0B87871C
	v_mul_f32_e32 v196, v28, v196                              // 000000006CA0: 0B89891C
	v_mul_f32_e32 v197, v28, v197                              // 000000006CA4: 0B8B8B1C
	v_mul_f32_e32 v198, v28, v198                              // 000000006CA8: 0B8D8D1C
	v_mul_f32_e32 v199, v28, v199                              // 000000006CAC: 0B8F8F1C
	v_mul_f32_e32 v200, v28, v200                              // 000000006CB0: 0B91911C
	v_mul_f32_e32 v201, v28, v201                              // 000000006CB4: 0B93931C
	v_mul_f32_e32 v202, v28, v202                              // 000000006CB8: 0B95951C
	v_mul_f32_e32 v203, v28, v203                              // 000000006CBC: 0B97971C
	v_mul_f32_e32 v204, v28, v204                              // 000000006CC0: 0B99991C
	v_mul_f32_e32 v205, v28, v205                              // 000000006CC4: 0B9B9B1C
	v_mul_f32_e32 v206, v28, v206                              // 000000006CC8: 0B9D9D1C
	v_mul_f32_e32 v207, v28, v207                              // 000000006CCC: 0B9F9F1C
	v_mul_f32_e32 v208, v28, v208                              // 000000006CD0: 0BA1A11C
	v_mul_f32_e32 v209, v28, v209                              // 000000006CD4: 0BA3A31C
	v_mul_f32_e32 v210, v28, v210                              // 000000006CD8: 0BA5A51C
	v_mul_f32_e32 v211, v28, v211                              // 000000006CDC: 0BA7A71C
	v_mul_f32_e32 v212, v28, v212                              // 000000006CE0: 0BA9A91C
	v_mul_f32_e32 v213, v28, v213                              // 000000006CE4: 0BABAB1C
	v_mul_f32_e32 v214, v28, v214                              // 000000006CE8: 0BADAD1C
	v_mul_f32_e32 v215, v28, v215                              // 000000006CEC: 0BAFAF1C
	v_mul_f32_e32 v216, v28, v216                              // 000000006CF0: 0BB1B11C
	v_mul_f32_e32 v217, v28, v217                              // 000000006CF4: 0BB3B31C
	v_mul_f32_e32 v218, v28, v218                              // 000000006CF8: 0BB5B51C
	v_mul_f32_e32 v219, v28, v219                              // 000000006CFC: 0BB7B71C
	v_mul_f32_e32 v220, v28, v220                              // 000000006D00: 0BB9B91C
	v_mul_f32_e32 v221, v28, v221                              // 000000006D04: 0BBBBB1C
	v_mul_f32_e32 v222, v28, v222                              // 000000006D08: 0BBDBD1C
	v_mul_f32_e32 v223, v28, v223                              // 000000006D0C: 0BBFBF1C
	v_accvgpr_read_b32 v29, a144                               // 000000006D10: D3D8401D 18000190
	v_mul_f32_e32 v29, v28, v29                                // 000000006D18: 0A3A3B1C
	v_accvgpr_write_b32 a144, v29                              // 000000006D1C: D3D94090 1800011D
	v_accvgpr_read_b32 v29, a145                               // 000000006D24: D3D8401D 18000191
	v_mul_f32_e32 v29, v28, v29                                // 000000006D2C: 0A3A3B1C
	v_accvgpr_write_b32 a145, v29                              // 000000006D30: D3D94091 1800011D
	v_accvgpr_read_b32 v29, a146                               // 000000006D38: D3D8401D 18000192
	v_mul_f32_e32 v29, v28, v29                                // 000000006D40: 0A3A3B1C
	v_accvgpr_write_b32 a146, v29                              // 000000006D44: D3D94092 1800011D
	v_accvgpr_read_b32 v29, a147                               // 000000006D4C: D3D8401D 18000193
	v_mul_f32_e32 v29, v28, v29                                // 000000006D54: 0A3A3B1C
	v_accvgpr_write_b32 a147, v29                              // 000000006D58: D3D94093 1800011D
	v_accvgpr_read_b32 v29, a148                               // 000000006D60: D3D8401D 18000194
	v_mul_f32_e32 v29, v28, v29                                // 000000006D68: 0A3A3B1C
	v_accvgpr_write_b32 a148, v29                              // 000000006D6C: D3D94094 1800011D
	v_accvgpr_read_b32 v29, a149                               // 000000006D74: D3D8401D 18000195
	v_mul_f32_e32 v29, v28, v29                                // 000000006D7C: 0A3A3B1C
	v_accvgpr_write_b32 a149, v29                              // 000000006D80: D3D94095 1800011D
	v_accvgpr_read_b32 v29, a150                               // 000000006D88: D3D8401D 18000196
	v_mul_f32_e32 v29, v28, v29                                // 000000006D90: 0A3A3B1C
	v_accvgpr_write_b32 a150, v29                              // 000000006D94: D3D94096 1800011D
	v_accvgpr_read_b32 v29, a151                               // 000000006D9C: D3D8401D 18000197
	v_mul_f32_e32 v29, v28, v29                                // 000000006DA4: 0A3A3B1C
	v_accvgpr_write_b32 a151, v29                              // 000000006DA8: D3D94097 1800011D
	v_accvgpr_read_b32 v29, a152                               // 000000006DB0: D3D8401D 18000198
	v_mul_f32_e32 v29, v28, v29                                // 000000006DB8: 0A3A3B1C
	v_accvgpr_write_b32 a152, v29                              // 000000006DBC: D3D94098 1800011D
	v_accvgpr_read_b32 v29, a153                               // 000000006DC4: D3D8401D 18000199
	v_mul_f32_e32 v29, v28, v29                                // 000000006DCC: 0A3A3B1C
	v_accvgpr_write_b32 a153, v29                              // 000000006DD0: D3D94099 1800011D
	v_accvgpr_read_b32 v29, a154                               // 000000006DD8: D3D8401D 1800019A
	v_mul_f32_e32 v29, v28, v29                                // 000000006DE0: 0A3A3B1C
	v_accvgpr_write_b32 a154, v29                              // 000000006DE4: D3D9409A 1800011D
	v_accvgpr_read_b32 v29, a155                               // 000000006DEC: D3D8401D 1800019B
	v_mul_f32_e32 v29, v28, v29                                // 000000006DF4: 0A3A3B1C
	v_accvgpr_write_b32 a155, v29                              // 000000006DF8: D3D9409B 1800011D
	v_accvgpr_read_b32 v29, a156                               // 000000006E00: D3D8401D 1800019C
	v_mul_f32_e32 v29, v28, v29                                // 000000006E08: 0A3A3B1C
	v_accvgpr_write_b32 a156, v29                              // 000000006E0C: D3D9409C 1800011D
	v_accvgpr_read_b32 v29, a157                               // 000000006E14: D3D8401D 1800019D
	v_mul_f32_e32 v29, v28, v29                                // 000000006E1C: 0A3A3B1C
	v_accvgpr_write_b32 a157, v29                              // 000000006E20: D3D9409D 1800011D
	v_accvgpr_read_b32 v29, a158                               // 000000006E28: D3D8401D 1800019E
	v_mul_f32_e32 v29, v28, v29                                // 000000006E30: 0A3A3B1C
	v_accvgpr_write_b32 a158, v29                              // 000000006E34: D3D9409E 1800011D
	v_accvgpr_read_b32 v29, a159                               // 000000006E3C: D3D8401D 1800019F
	v_mul_f32_e32 v29, v28, v29                                // 000000006E44: 0A3A3B1C
	v_accvgpr_write_b32 a159, v29                              // 000000006E48: D3D9409F 1800011D
	v_accvgpr_read_b32 v29, a160                               // 000000006E50: D3D8401D 180001A0
	v_mul_f32_e32 v29, v28, v29                                // 000000006E58: 0A3A3B1C
	v_accvgpr_write_b32 a160, v29                              // 000000006E5C: D3D940A0 1800011D
	v_accvgpr_read_b32 v29, a161                               // 000000006E64: D3D8401D 180001A1
	v_mul_f32_e32 v29, v28, v29                                // 000000006E6C: 0A3A3B1C
	v_accvgpr_write_b32 a161, v29                              // 000000006E70: D3D940A1 1800011D
	v_accvgpr_read_b32 v29, a162                               // 000000006E78: D3D8401D 180001A2
	v_mul_f32_e32 v29, v28, v29                                // 000000006E80: 0A3A3B1C
	v_accvgpr_write_b32 a162, v29                              // 000000006E84: D3D940A2 1800011D
	v_accvgpr_read_b32 v29, a163                               // 000000006E8C: D3D8401D 180001A3
	v_mul_f32_e32 v29, v28, v29                                // 000000006E94: 0A3A3B1C
	v_accvgpr_write_b32 a163, v29                              // 000000006E98: D3D940A3 1800011D
	v_accvgpr_read_b32 v29, a164                               // 000000006EA0: D3D8401D 180001A4
	v_mul_f32_e32 v29, v28, v29                                // 000000006EA8: 0A3A3B1C
	v_accvgpr_write_b32 a164, v29                              // 000000006EAC: D3D940A4 1800011D
	v_accvgpr_read_b32 v29, a165                               // 000000006EB4: D3D8401D 180001A5
	v_mul_f32_e32 v29, v28, v29                                // 000000006EBC: 0A3A3B1C
	v_accvgpr_write_b32 a165, v29                              // 000000006EC0: D3D940A5 1800011D
	v_accvgpr_read_b32 v29, a166                               // 000000006EC8: D3D8401D 180001A6
	v_mul_f32_e32 v29, v28, v29                                // 000000006ED0: 0A3A3B1C
	v_accvgpr_write_b32 a166, v29                              // 000000006ED4: D3D940A6 1800011D
	v_accvgpr_read_b32 v29, a167                               // 000000006EDC: D3D8401D 180001A7
	v_mul_f32_e32 v29, v28, v29                                // 000000006EE4: 0A3A3B1C
	v_accvgpr_write_b32 a167, v29                              // 000000006EE8: D3D940A7 1800011D
	v_accvgpr_read_b32 v29, a168                               // 000000006EF0: D3D8401D 180001A8
	v_mul_f32_e32 v29, v28, v29                                // 000000006EF8: 0A3A3B1C
	v_accvgpr_write_b32 a168, v29                              // 000000006EFC: D3D940A8 1800011D
	v_accvgpr_read_b32 v29, a169                               // 000000006F04: D3D8401D 180001A9
	v_mul_f32_e32 v29, v28, v29                                // 000000006F0C: 0A3A3B1C
	v_accvgpr_write_b32 a169, v29                              // 000000006F10: D3D940A9 1800011D
	v_accvgpr_read_b32 v29, a170                               // 000000006F18: D3D8401D 180001AA
	v_mul_f32_e32 v29, v28, v29                                // 000000006F20: 0A3A3B1C
	v_accvgpr_write_b32 a170, v29                              // 000000006F24: D3D940AA 1800011D
	v_accvgpr_read_b32 v29, a171                               // 000000006F2C: D3D8401D 180001AB
	v_mul_f32_e32 v29, v28, v29                                // 000000006F34: 0A3A3B1C
	v_accvgpr_write_b32 a171, v29                              // 000000006F38: D3D940AB 1800011D
	v_accvgpr_read_b32 v29, a172                               // 000000006F40: D3D8401D 180001AC
	v_mul_f32_e32 v29, v28, v29                                // 000000006F48: 0A3A3B1C
	v_accvgpr_write_b32 a172, v29                              // 000000006F4C: D3D940AC 1800011D
	v_accvgpr_read_b32 v29, a173                               // 000000006F54: D3D8401D 180001AD
	v_mul_f32_e32 v29, v28, v29                                // 000000006F5C: 0A3A3B1C
	v_accvgpr_write_b32 a173, v29                              // 000000006F60: D3D940AD 1800011D
	v_accvgpr_read_b32 v29, a174                               // 000000006F68: D3D8401D 180001AE
	v_mul_f32_e32 v29, v28, v29                                // 000000006F70: 0A3A3B1C
	v_accvgpr_write_b32 a174, v29                              // 000000006F74: D3D940AE 1800011D
	v_accvgpr_read_b32 v29, a175                               // 000000006F7C: D3D8401D 180001AF
	v_mul_f32_e32 v29, v28, v29                                // 000000006F84: 0A3A3B1C
	v_accvgpr_write_b32 a175, v29                              // 000000006F88: D3D940AF 1800011D
	v_accvgpr_read_b32 v29, a176                               // 000000006F90: D3D8401D 180001B0
	v_mul_f32_e32 v29, v28, v29                                // 000000006F98: 0A3A3B1C
	v_accvgpr_write_b32 a176, v29                              // 000000006F9C: D3D940B0 1800011D
	v_accvgpr_read_b32 v29, a177                               // 000000006FA4: D3D8401D 180001B1
	v_mul_f32_e32 v29, v28, v29                                // 000000006FAC: 0A3A3B1C
	v_accvgpr_write_b32 a177, v29                              // 000000006FB0: D3D940B1 1800011D
	v_accvgpr_read_b32 v29, a178                               // 000000006FB8: D3D8401D 180001B2
	v_mul_f32_e32 v29, v28, v29                                // 000000006FC0: 0A3A3B1C
	v_accvgpr_write_b32 a178, v29                              // 000000006FC4: D3D940B2 1800011D
	v_accvgpr_read_b32 v29, a179                               // 000000006FCC: D3D8401D 180001B3
	v_mul_f32_e32 v29, v28, v29                                // 000000006FD4: 0A3A3B1C
	v_accvgpr_write_b32 a179, v29                              // 000000006FD8: D3D940B3 1800011D
	v_accvgpr_read_b32 v29, a180                               // 000000006FE0: D3D8401D 180001B4
	v_mul_f32_e32 v29, v28, v29                                // 000000006FE8: 0A3A3B1C
	v_accvgpr_write_b32 a180, v29                              // 000000006FEC: D3D940B4 1800011D
	v_accvgpr_read_b32 v29, a181                               // 000000006FF4: D3D8401D 180001B5
	v_mul_f32_e32 v29, v28, v29                                // 000000006FFC: 0A3A3B1C
	v_accvgpr_write_b32 a181, v29                              // 000000007000: D3D940B5 1800011D
	v_accvgpr_read_b32 v29, a182                               // 000000007008: D3D8401D 180001B6
	v_mul_f32_e32 v29, v28, v29                                // 000000007010: 0A3A3B1C
	v_accvgpr_write_b32 a182, v29                              // 000000007014: D3D940B6 1800011D
	v_accvgpr_read_b32 v29, a183                               // 00000000701C: D3D8401D 180001B7
	v_mul_f32_e32 v29, v28, v29                                // 000000007024: 0A3A3B1C
	v_accvgpr_write_b32 a183, v29                              // 000000007028: D3D940B7 1800011D
	v_accvgpr_read_b32 v29, a184                               // 000000007030: D3D8401D 180001B8
	v_mul_f32_e32 v29, v28, v29                                // 000000007038: 0A3A3B1C
	v_accvgpr_write_b32 a184, v29                              // 00000000703C: D3D940B8 1800011D
	v_accvgpr_read_b32 v29, a185                               // 000000007044: D3D8401D 180001B9
	v_mul_f32_e32 v29, v28, v29                                // 00000000704C: 0A3A3B1C
	v_accvgpr_write_b32 a185, v29                              // 000000007050: D3D940B9 1800011D
	v_accvgpr_read_b32 v29, a186                               // 000000007058: D3D8401D 180001BA
	v_mul_f32_e32 v29, v28, v29                                // 000000007060: 0A3A3B1C
	v_accvgpr_write_b32 a186, v29                              // 000000007064: D3D940BA 1800011D
	v_accvgpr_read_b32 v29, a187                               // 00000000706C: D3D8401D 180001BB
	v_mul_f32_e32 v29, v28, v29                                // 000000007074: 0A3A3B1C
	v_accvgpr_write_b32 a187, v29                              // 000000007078: D3D940BB 1800011D
	v_accvgpr_read_b32 v29, a188                               // 000000007080: D3D8401D 180001BC
	v_mul_f32_e32 v29, v28, v29                                // 000000007088: 0A3A3B1C
	v_accvgpr_write_b32 a188, v29                              // 00000000708C: D3D940BC 1800011D
	v_accvgpr_read_b32 v29, a189                               // 000000007094: D3D8401D 180001BD
	v_mul_f32_e32 v29, v28, v29                                // 00000000709C: 0A3A3B1C
	v_accvgpr_write_b32 a189, v29                              // 0000000070A0: D3D940BD 1800011D
	v_accvgpr_read_b32 v29, a190                               // 0000000070A8: D3D8401D 180001BE
	v_mul_f32_e32 v29, v28, v29                                // 0000000070B0: 0A3A3B1C
	v_accvgpr_write_b32 a190, v29                              // 0000000070B4: D3D940BE 1800011D
	v_accvgpr_read_b32 v29, a191                               // 0000000070BC: D3D8401D 180001BF
	v_mul_f32_e32 v29, v28, v29                                // 0000000070C4: 0A3A3B1C
	v_accvgpr_write_b32 a191, v29                              // 0000000070C8: D3D940BF 1800011D
	v_accvgpr_read_b32 v29, a192                               // 0000000070D0: D3D8401D 180001C0
	v_mul_f32_e32 v29, v28, v29                                // 0000000070D8: 0A3A3B1C
	v_accvgpr_write_b32 a192, v29                              // 0000000070DC: D3D940C0 1800011D
	v_accvgpr_read_b32 v29, a193                               // 0000000070E4: D3D8401D 180001C1
	v_mul_f32_e32 v29, v28, v29                                // 0000000070EC: 0A3A3B1C
	v_accvgpr_write_b32 a193, v29                              // 0000000070F0: D3D940C1 1800011D
	v_accvgpr_read_b32 v29, a194                               // 0000000070F8: D3D8401D 180001C2
	v_mul_f32_e32 v29, v28, v29                                // 000000007100: 0A3A3B1C
	v_accvgpr_write_b32 a194, v29                              // 000000007104: D3D940C2 1800011D
	v_accvgpr_read_b32 v29, a195                               // 00000000710C: D3D8401D 180001C3
	v_mul_f32_e32 v29, v28, v29                                // 000000007114: 0A3A3B1C
	v_accvgpr_write_b32 a195, v29                              // 000000007118: D3D940C3 1800011D
	v_accvgpr_read_b32 v29, a196                               // 000000007120: D3D8401D 180001C4
	v_mul_f32_e32 v29, v28, v29                                // 000000007128: 0A3A3B1C
	v_accvgpr_write_b32 a196, v29                              // 00000000712C: D3D940C4 1800011D
	v_accvgpr_read_b32 v29, a197                               // 000000007134: D3D8401D 180001C5
	v_mul_f32_e32 v29, v28, v29                                // 00000000713C: 0A3A3B1C
	v_accvgpr_write_b32 a197, v29                              // 000000007140: D3D940C5 1800011D
	v_accvgpr_read_b32 v29, a198                               // 000000007148: D3D8401D 180001C6
	v_mul_f32_e32 v29, v28, v29                                // 000000007150: 0A3A3B1C
	v_accvgpr_write_b32 a198, v29                              // 000000007154: D3D940C6 1800011D
	v_accvgpr_read_b32 v29, a199                               // 00000000715C: D3D8401D 180001C7
	v_mul_f32_e32 v29, v28, v29                                // 000000007164: 0A3A3B1C
	v_accvgpr_write_b32 a199, v29                              // 000000007168: D3D940C7 1800011D
	v_accvgpr_read_b32 v29, a200                               // 000000007170: D3D8401D 180001C8
	v_mul_f32_e32 v29, v28, v29                                // 000000007178: 0A3A3B1C
	v_accvgpr_write_b32 a200, v29                              // 00000000717C: D3D940C8 1800011D
	v_accvgpr_read_b32 v29, a201                               // 000000007184: D3D8401D 180001C9
	v_mul_f32_e32 v29, v28, v29                                // 00000000718C: 0A3A3B1C
	v_accvgpr_write_b32 a201, v29                              // 000000007190: D3D940C9 1800011D
	v_accvgpr_read_b32 v29, a202                               // 000000007198: D3D8401D 180001CA
	v_mul_f32_e32 v29, v28, v29                                // 0000000071A0: 0A3A3B1C
	v_accvgpr_write_b32 a202, v29                              // 0000000071A4: D3D940CA 1800011D
	v_accvgpr_read_b32 v29, a203                               // 0000000071AC: D3D8401D 180001CB
	v_mul_f32_e32 v29, v28, v29                                // 0000000071B4: 0A3A3B1C
	v_accvgpr_write_b32 a203, v29                              // 0000000071B8: D3D940CB 1800011D
	v_accvgpr_read_b32 v29, a204                               // 0000000071C0: D3D8401D 180001CC
	v_mul_f32_e32 v29, v28, v29                                // 0000000071C8: 0A3A3B1C
	v_accvgpr_write_b32 a204, v29                              // 0000000071CC: D3D940CC 1800011D
	v_accvgpr_read_b32 v29, a205                               // 0000000071D4: D3D8401D 180001CD
	v_mul_f32_e32 v29, v28, v29                                // 0000000071DC: 0A3A3B1C
	v_accvgpr_write_b32 a205, v29                              // 0000000071E0: D3D940CD 1800011D
	v_accvgpr_read_b32 v29, a206                               // 0000000071E8: D3D8401D 180001CE
	v_mul_f32_e32 v29, v28, v29                                // 0000000071F0: 0A3A3B1C
	v_accvgpr_write_b32 a206, v29                              // 0000000071F4: D3D940CE 1800011D
	v_accvgpr_read_b32 v29, a207                               // 0000000071FC: D3D8401D 180001CF
	v_mul_f32_e32 v29, v28, v29                                // 000000007204: 0A3A3B1C
	v_accvgpr_write_b32 a207, v29                              // 000000007208: D3D940CF 1800011D
	v_accvgpr_read_b32 v29, a208                               // 000000007210: D3D8401D 180001D0
	v_mul_f32_e32 v29, v28, v29                                // 000000007218: 0A3A3B1C
	v_accvgpr_write_b32 a208, v29                              // 00000000721C: D3D940D0 1800011D
	v_accvgpr_read_b32 v29, a209                               // 000000007224: D3D8401D 180001D1
	v_mul_f32_e32 v29, v28, v29                                // 00000000722C: 0A3A3B1C
	v_accvgpr_write_b32 a209, v29                              // 000000007230: D3D940D1 1800011D
	v_accvgpr_read_b32 v29, a210                               // 000000007238: D3D8401D 180001D2
	v_mul_f32_e32 v29, v28, v29                                // 000000007240: 0A3A3B1C
	v_accvgpr_write_b32 a210, v29                              // 000000007244: D3D940D2 1800011D
	v_accvgpr_read_b32 v29, a211                               // 00000000724C: D3D8401D 180001D3
	v_mul_f32_e32 v29, v28, v29                                // 000000007254: 0A3A3B1C
	v_accvgpr_write_b32 a211, v29                              // 000000007258: D3D940D3 1800011D
	v_accvgpr_read_b32 v29, a212                               // 000000007260: D3D8401D 180001D4
	v_mul_f32_e32 v29, v28, v29                                // 000000007268: 0A3A3B1C
	v_accvgpr_write_b32 a212, v29                              // 00000000726C: D3D940D4 1800011D
	v_accvgpr_read_b32 v29, a213                               // 000000007274: D3D8401D 180001D5
	v_mul_f32_e32 v29, v28, v29                                // 00000000727C: 0A3A3B1C
	v_accvgpr_write_b32 a213, v29                              // 000000007280: D3D940D5 1800011D
	v_accvgpr_read_b32 v29, a214                               // 000000007288: D3D8401D 180001D6
	v_mul_f32_e32 v29, v28, v29                                // 000000007290: 0A3A3B1C
	v_accvgpr_write_b32 a214, v29                              // 000000007294: D3D940D6 1800011D
	v_accvgpr_read_b32 v29, a215                               // 00000000729C: D3D8401D 180001D7
	v_mul_f32_e32 v29, v28, v29                                // 0000000072A4: 0A3A3B1C
	v_accvgpr_write_b32 a215, v29                              // 0000000072A8: D3D940D7 1800011D
	v_accvgpr_read_b32 v29, a216                               // 0000000072B0: D3D8401D 180001D8
	v_mul_f32_e32 v29, v28, v29                                // 0000000072B8: 0A3A3B1C
	v_accvgpr_write_b32 a216, v29                              // 0000000072BC: D3D940D8 1800011D
	v_accvgpr_read_b32 v29, a217                               // 0000000072C4: D3D8401D 180001D9
	v_mul_f32_e32 v29, v28, v29                                // 0000000072CC: 0A3A3B1C
	v_accvgpr_write_b32 a217, v29                              // 0000000072D0: D3D940D9 1800011D
	v_accvgpr_read_b32 v29, a218                               // 0000000072D8: D3D8401D 180001DA
	v_mul_f32_e32 v29, v28, v29                                // 0000000072E0: 0A3A3B1C
	v_accvgpr_write_b32 a218, v29                              // 0000000072E4: D3D940DA 1800011D
	v_accvgpr_read_b32 v29, a219                               // 0000000072EC: D3D8401D 180001DB
	v_mul_f32_e32 v29, v28, v29                                // 0000000072F4: 0A3A3B1C
	v_accvgpr_write_b32 a219, v29                              // 0000000072F8: D3D940DB 1800011D
	v_accvgpr_read_b32 v29, a220                               // 000000007300: D3D8401D 180001DC
	v_mul_f32_e32 v29, v28, v29                                // 000000007308: 0A3A3B1C
	v_accvgpr_write_b32 a220, v29                              // 00000000730C: D3D940DC 1800011D
	v_accvgpr_read_b32 v29, a221                               // 000000007314: D3D8401D 180001DD
	v_mul_f32_e32 v29, v28, v29                                // 00000000731C: 0A3A3B1C
	v_accvgpr_write_b32 a221, v29                              // 000000007320: D3D940DD 1800011D
	v_accvgpr_read_b32 v29, a222                               // 000000007328: D3D8401D 180001DE
	v_mul_f32_e32 v29, v28, v29                                // 000000007330: 0A3A3B1C
	v_accvgpr_write_b32 a222, v29                              // 000000007334: D3D940DE 1800011D
	v_accvgpr_read_b32 v29, a223                               // 00000000733C: D3D8401D 180001DF
	v_mul_f32_e32 v29, v28, v29                                // 000000007344: 0A3A3B1C
	v_accvgpr_write_b32 a223, v29                              // 000000007348: D3D940DF 1800011D
	v_accvgpr_read_b32 v29, a224                               // 000000007350: D3D8401D 180001E0
	v_mul_f32_e32 v29, v28, v29                                // 000000007358: 0A3A3B1C
	v_accvgpr_write_b32 a224, v29                              // 00000000735C: D3D940E0 1800011D
	v_accvgpr_read_b32 v29, a225                               // 000000007364: D3D8401D 180001E1
	v_mul_f32_e32 v29, v28, v29                                // 00000000736C: 0A3A3B1C
	v_accvgpr_write_b32 a225, v29                              // 000000007370: D3D940E1 1800011D
	v_accvgpr_read_b32 v29, a226                               // 000000007378: D3D8401D 180001E2
	v_mul_f32_e32 v29, v28, v29                                // 000000007380: 0A3A3B1C
	v_accvgpr_write_b32 a226, v29                              // 000000007384: D3D940E2 1800011D
	v_accvgpr_read_b32 v29, a227                               // 00000000738C: D3D8401D 180001E3
	v_mul_f32_e32 v29, v28, v29                                // 000000007394: 0A3A3B1C
	v_accvgpr_write_b32 a227, v29                              // 000000007398: D3D940E3 1800011D
	v_accvgpr_read_b32 v29, a228                               // 0000000073A0: D3D8401D 180001E4
	v_mul_f32_e32 v29, v28, v29                                // 0000000073A8: 0A3A3B1C
	v_accvgpr_write_b32 a228, v29                              // 0000000073AC: D3D940E4 1800011D
	v_accvgpr_read_b32 v29, a229                               // 0000000073B4: D3D8401D 180001E5
	v_mul_f32_e32 v29, v28, v29                                // 0000000073BC: 0A3A3B1C
	v_accvgpr_write_b32 a229, v29                              // 0000000073C0: D3D940E5 1800011D
	v_accvgpr_read_b32 v29, a230                               // 0000000073C8: D3D8401D 180001E6
	v_mul_f32_e32 v29, v28, v29                                // 0000000073D0: 0A3A3B1C
	v_accvgpr_write_b32 a230, v29                              // 0000000073D4: D3D940E6 1800011D
	v_accvgpr_read_b32 v29, a231                               // 0000000073DC: D3D8401D 180001E7
	v_mul_f32_e32 v29, v28, v29                                // 0000000073E4: 0A3A3B1C
	v_accvgpr_write_b32 a231, v29                              // 0000000073E8: D3D940E7 1800011D
	v_accvgpr_read_b32 v29, a232                               // 0000000073F0: D3D8401D 180001E8
	v_mul_f32_e32 v29, v28, v29                                // 0000000073F8: 0A3A3B1C
	v_accvgpr_write_b32 a232, v29                              // 0000000073FC: D3D940E8 1800011D
	v_accvgpr_read_b32 v29, a233                               // 000000007404: D3D8401D 180001E9
	v_mul_f32_e32 v29, v28, v29                                // 00000000740C: 0A3A3B1C
	v_accvgpr_write_b32 a233, v29                              // 000000007410: D3D940E9 1800011D
	v_accvgpr_read_b32 v29, a234                               // 000000007418: D3D8401D 180001EA
	v_mul_f32_e32 v29, v28, v29                                // 000000007420: 0A3A3B1C
	v_accvgpr_write_b32 a234, v29                              // 000000007424: D3D940EA 1800011D
	v_accvgpr_read_b32 v29, a235                               // 00000000742C: D3D8401D 180001EB
	v_mul_f32_e32 v29, v28, v29                                // 000000007434: 0A3A3B1C
	v_accvgpr_write_b32 a235, v29                              // 000000007438: D3D940EB 1800011D
	v_accvgpr_read_b32 v29, a236                               // 000000007440: D3D8401D 180001EC
	v_mul_f32_e32 v29, v28, v29                                // 000000007448: 0A3A3B1C
	v_accvgpr_write_b32 a236, v29                              // 00000000744C: D3D940EC 1800011D
	v_accvgpr_read_b32 v29, a237                               // 000000007454: D3D8401D 180001ED
	v_mul_f32_e32 v29, v28, v29                                // 00000000745C: 0A3A3B1C
	v_accvgpr_write_b32 a237, v29                              // 000000007460: D3D940ED 1800011D
	v_accvgpr_read_b32 v29, a238                               // 000000007468: D3D8401D 180001EE
	v_mul_f32_e32 v29, v28, v29                                // 000000007470: 0A3A3B1C
	v_accvgpr_write_b32 a238, v29                              // 000000007474: D3D940EE 1800011D
	v_accvgpr_read_b32 v29, a239                               // 00000000747C: D3D8401D 180001EF
	v_mul_f32_e32 v29, v28, v29                                // 000000007484: 0A3A3B1C
	v_accvgpr_write_b32 a239, v29                              // 000000007488: D3D940EF 1800011D
	s_waitcnt lgkmcnt(0)                                       // 000000007490: BF8CC07F
	v_mfma_f32_32x32x64_f8f6f4 v[64:79], a[72:79], v[32:39], v[64:79]// 000000007494: D3AE0040 0D024148
	ds_read_b64_tr_b8 a[72:73], v5 offset:4096                 // 00000000749C: DBC41000 48000005
	ds_read_b64_tr_b8 a[74:75], v6 offset:4096                 // 0000000074A4: DBC41000 4A000006
	ds_read_b64_tr_b8 a[76:77], v5 offset:22528                // 0000000074AC: DBC45800 4C000005
	ds_read_b64_tr_b8 a[78:79], v6 offset:22528                // 0000000074B4: DBC45800 4E000006
	v_mfma_f32_32x32x64_f8f6f4 v[80:95], a[80:87], v[32:39], v[80:95]// 0000000074BC: D3AE0050 0D424150
	ds_read_b64_tr_b8 a[80:81], v7 offset:4096                 // 0000000074C4: DBC41000 50000007
	ds_read_b64_tr_b8 a[82:83], v8 offset:4096                 // 0000000074CC: DBC41000 52000008
	ds_read_b64_tr_b8 a[84:85], v7 offset:22528                // 0000000074D4: DBC45800 54000007
	ds_read_b64_tr_b8 a[86:87], v8 offset:22528                // 0000000074DC: DBC45800 56000008
	v_mfma_f32_32x32x64_f8f6f4 v[96:111], a[88:95], v[32:39], v[96:111]// 0000000074E4: D3AE0060 0D824158
	ds_read_b64_tr_b8 a[88:89], v5 offset:5120                 // 0000000074EC: DBC41400 58000005
	ds_read_b64_tr_b8 a[90:91], v6 offset:5120                 // 0000000074F4: DBC41400 5A000006
	ds_read_b64_tr_b8 a[92:93], v5 offset:23552                // 0000000074FC: DBC45C00 5C000005
	ds_read_b64_tr_b8 a[94:95], v6 offset:23552                // 000000007504: DBC45C00 5E000006
	v_mfma_f32_32x32x64_f8f6f4 v[112:127], a[96:103], v[32:39], v[112:127]// 00000000750C: D3AE0070 0DC24160
	ds_read_b64_tr_b8 a[96:97], v7 offset:5120                 // 000000007514: DBC41400 60000007
	ds_read_b64_tr_b8 a[98:99], v8 offset:5120                 // 00000000751C: DBC41400 62000008
	ds_read_b64_tr_b8 a[100:101], v7 offset:23552              // 000000007524: DBC45C00 64000007
	ds_read_b64_tr_b8 a[102:103], v8 offset:23552              // 00000000752C: DBC45C00 66000008
	v_mfma_f32_32x32x64_f8f6f4 v[128:143], a[104:111], v[32:39], v[128:143]// 000000007534: D3AE0080 0E024168
	ds_read_b64_tr_b8 a[104:105], v5 offset:6144               // 00000000753C: DBC41800 68000005
	ds_read_b64_tr_b8 a[106:107], v6 offset:6144               // 000000007544: DBC41800 6A000006
	ds_read_b64_tr_b8 a[108:109], v5 offset:24576              // 00000000754C: DBC46000 6C000005
	ds_read_b64_tr_b8 a[110:111], v6 offset:24576              // 000000007554: DBC46000 6E000006
	v_mfma_f32_32x32x64_f8f6f4 v[144:159], a[112:119], v[32:39], v[144:159]// 00000000755C: D3AE0090 0E424170
	ds_read_b64_tr_b8 a[112:113], v7 offset:6144               // 000000007564: DBC41800 70000007
	ds_read_b64_tr_b8 a[114:115], v8 offset:6144               // 00000000756C: DBC41800 72000008
	ds_read_b64_tr_b8 a[116:117], v7 offset:24576              // 000000007574: DBC46000 74000007
	ds_read_b64_tr_b8 a[118:119], v8 offset:24576              // 00000000757C: DBC46000 76000008
	v_mfma_f32_32x32x64_f8f6f4 v[160:175], a[120:127], v[32:39], v[160:175]// 000000007584: D3AE00A0 0E824178
	ds_read_b64_tr_b8 a[120:121], v5 offset:7168               // 00000000758C: DBC41C00 78000005
	ds_read_b64_tr_b8 a[122:123], v6 offset:7168               // 000000007594: DBC41C00 7A000006
	ds_read_b64_tr_b8 a[124:125], v5 offset:25600              // 00000000759C: DBC46400 7C000005
	ds_read_b64_tr_b8 a[126:127], v6 offset:25600              // 0000000075A4: DBC46400 7E000006
	v_mfma_f32_32x32x64_f8f6f4 v[176:191], a[128:135], v[32:39], v[176:191]// 0000000075AC: D3AE00B0 0EC24180
	ds_read_b64_tr_b8 a[128:129], v7 offset:7168               // 0000000075B4: DBC41C00 80000007
	ds_read_b64_tr_b8 a[130:131], v8 offset:7168               // 0000000075BC: DBC41C00 82000008
	ds_read_b64_tr_b8 a[132:133], v7 offset:25600              // 0000000075C4: DBC46400 84000007
	ds_read_b64_tr_b8 a[134:135], v8 offset:25600              // 0000000075CC: DBC46400 86000008
	s_waitcnt lgkmcnt(0)                                       // 0000000075D4: BF8CC07F
	v_mfma_f32_32x32x64_f8f6f4 v[192:207], a[72:79], v[32:39], v[192:207]// 0000000075D8: D3AE00C0 0F024148
	v_mfma_f32_32x32x64_f8f6f4 v[208:223], a[80:87], v[32:39], v[208:223]// 0000000075E0: D3AE00D0 0F424150
	s_waitcnt vmcnt(10)                                        // 0000000075E8: BF8C0F7A
	s_barrier                                                  // 0000000075EC: BF8A0000
	ds_read_b128 a[72:75], v20                                 // 0000000075F0: DBFE0000 48000014
	ds_read_b128 a[76:79], v21                                 // 0000000075F8: DBFE0000 4C000015
	v_mfma_f32_32x32x64_f8f6f4 a[144:159], a[88:95], v[32:39], a[144:159]// 000000007600: D3AE8090 0E424158
	ds_read_b128 a[80:83], v20 offset:1024                     // 000000007608: DBFE0400 50000014
	ds_read_b128 a[84:87], v21 offset:1024                     // 000000007610: DBFE0400 54000015
	v_mfma_f32_32x32x64_f8f6f4 a[160:175], a[96:103], v[32:39], a[160:175]// 000000007618: D3AE80A0 0E824160
	ds_read_b128 a[88:91], v20 offset:2048                     // 000000007620: DBFE0800 58000014
	ds_read_b128 a[92:95], v21 offset:2048                     // 000000007628: DBFE0800 5C000015
	v_mfma_f32_32x32x64_f8f6f4 a[176:191], a[104:111], v[32:39], a[176:191]// 000000007630: D3AE80B0 0EC24168
	ds_read_b128 a[96:99], v20 offset:3072                     // 000000007638: DBFE0C00 60000014
	ds_read_b128 a[100:103], v21 offset:3072                   // 000000007640: DBFE0C00 64000015
	v_mfma_f32_32x32x64_f8f6f4 a[192:207], a[112:119], v[32:39], a[192:207]// 000000007648: D3AE80C0 0F024170
	ds_read_b128 a[104:107], v20 offset:4096                   // 000000007650: DBFE1000 68000014
	ds_read_b128 a[108:111], v21 offset:4096                   // 000000007658: DBFE1000 6C000015
	v_mfma_f32_32x32x64_f8f6f4 a[208:223], a[120:127], v[32:39], a[208:223]// 000000007660: D3AE80D0 0F424178
	ds_read_b128 a[112:115], v20 offset:5120                   // 000000007668: DBFE1400 70000014
	ds_read_b128 a[116:119], v21 offset:5120                   // 000000007670: DBFE1400 74000015
	v_mfma_f32_32x32x64_f8f6f4 a[224:239], a[128:135], v[32:39], a[224:239]// 000000007678: D3AE80E0 0F824180
	ds_read_b128 a[120:123], v20 offset:6144                   // 000000007680: DBFE1800 78000014
	ds_read_b128 a[124:127], v21 offset:6144                   // 000000007688: DBFE1800 7C000015
	ds_read_b128 a[128:131], v20 offset:7168                   // 000000007690: DBFE1C00 80000014
	ds_read_b128 a[132:135], v21 offset:7168                   // 000000007698: DBFE1C00 84000015
	ds_read_b128 a[136:139], v20 offset:8192                   // 0000000076A0: DBFE2000 88000014
	ds_read_b128 a[140:143], v21 offset:8192                   // 0000000076A8: DBFE2000 8C000015
	s_addk_i32 s70, 0x1                                        // 0000000076B0: B7460001
	s_cmp_lt_i32 s70, s71                                      // 0000000076B4: BF044746
	s_cbranch_scc0 label_52C0                                  // 0000000076B8: BF840001
	s_branch label_111C                                        // 0000000076BC: BF82EF97

00000000000076c0 <label_52C0>:
	s_nop 0                                                    // 0000000076C0: BF800000
	s_nop 0                                                    // 0000000076C4: BF800000
	s_branch label_9470                                        // 0000000076C8: BF821069

00000000000076cc <label_52CC>:
	s_waitcnt lgkmcnt(4)                                       // 0000000076CC: BF8CC47F
	v_mfma_f32_32x32x64_f8f6f4 v[32:47], a[72:79], a[0:7], 0   // 0000000076D0: D3AE0020 1A020148
	v_mul_u32_u24_e64 v31, v26, s68                            // 0000000076D8: D108001F 0000891A
	v_add_u32_e32 v31, v31, v1                                 // 0000000076E0: 683E031F
	buffer_load_dword v25, v27, s[24:27], 0 offen              // 0000000076E4: E0501000 8006191B
	v_mfma_f32_32x32x64_f8f6f4 v[32:47], a[80:87], a[8:15], v[32:47]// 0000000076EC: D3AE0020 1C821150
	s_mov_b32 s56, 0xb000                                      // 0000000076F4: BEB800FF 0000B000
	s_mul_i32 s57, s7, 0x2400                                  // 0000000076FC: 9239FF07 00002400
	s_add_u32 m0, s56, s57                                     // 000000007704: 807C3938
	buffer_load_dwordx4 v31, s[20:23], 0 offen lds             // 000000007708: E05D1000 8005001F
	s_add_i32 m0, m0, 0x3c0                                    // 000000007710: 817CFF7C 000003C0
	v_mfma_f32_32x32x64_f8f6f4 v[32:47], a[88:95], a[16:23], v[32:47]// 000000007718: D3AE0020 1C822158
	ds_read_b128 a[72:75], v20 offset:18432                    // 000000007720: DBFE4800 48000014
	ds_read_b128 a[76:79], v21 offset:18432                    // 000000007728: DBFE4800 4C000015
	v_mfma_f32_32x32x64_f8f6f4 v[32:47], a[96:103], a[24:31], v[32:47]// 000000007730: D3AE0020 1C823160
	buffer_load_dwordx4 v31, s[20:23], 0 offen offset:64 lds   // 000000007738: E05D1040 8005001F
	s_add_i32 m0, m0, 0x3c0                                    // 000000007740: 817CFF7C 000003C0
	ds_read_b128 a[80:83], v20 offset:19456                    // 000000007748: DBFE4C00 50000014
	ds_read_b128 a[84:87], v21 offset:19456                    // 000000007750: DBFE4C00 54000015
	v_mfma_f32_32x32x64_f8f6f4 v[32:47], a[104:111], a[32:39], v[32:47]// 000000007758: D3AE0020 1C824168
	ds_read_b128 a[88:91], v20 offset:20480                    // 000000007760: DBFE5000 58000014
	ds_read_b128 a[92:95], v21 offset:20480                    // 000000007768: DBFE5000 5C000015
	v_mfma_f32_32x32x64_f8f6f4 v[32:47], a[112:119], a[40:47], v[32:47]// 000000007770: D3AE0020 1C825170
	buffer_load_dwordx4 v31, s[20:23], 0 offen offset:128 lds  // 000000007778: E05D1080 8005001F
	s_add_i32 m0, m0, 0x3c0                                    // 000000007780: 817CFF7C 000003C0
	ds_read_b128 a[96:99], v20 offset:21504                    // 000000007788: DBFE5400 60000014
	ds_read_b128 a[100:103], v21 offset:21504                  // 000000007790: DBFE5400 64000015
	v_mfma_f32_32x32x64_f8f6f4 v[32:47], a[120:127], a[48:55], v[32:47]// 000000007798: D3AE0020 1C826178
	ds_read_b128 a[104:107], v20 offset:22528                  // 0000000077A0: DBFE5800 68000014
	ds_read_b128 a[108:111], v21 offset:22528                  // 0000000077A8: DBFE5800 6C000015
	v_mfma_f32_32x32x64_f8f6f4 v[32:47], a[128:135], a[56:63], v[32:47]// 0000000077B0: D3AE0020 1C827180
	buffer_load_dwordx4 v31, s[20:23], 0 offen offset:192 lds  // 0000000077B8: E05D10C0 8005001F
	s_add_i32 m0, m0, 0x3c0                                    // 0000000077C0: 817CFF7C 000003C0
	ds_read_b128 a[112:115], v20 offset:23552                  // 0000000077C8: DBFE5C00 70000014
	ds_read_b128 a[116:119], v21 offset:23552                  // 0000000077D0: DBFE5C00 74000015
	v_mfma_f32_32x32x64_f8f6f4 v[32:47], a[136:143], a[64:71], v[32:47]// 0000000077D8: D3AE0020 1C828188
	ds_read_b128 a[120:123], v20 offset:24576                  // 0000000077E0: DBFE6000 78000014
	ds_read_b128 a[124:127], v21 offset:24576                  // 0000000077E8: DBFE6000 7C000015
	buffer_load_dwordx4 v31, s[20:23], 0 offen offset:256 lds  // 0000000077F0: E05D1100 8005001F
	s_add_i32 m0, m0, 0x3c0                                    // 0000000077F8: 817CFF7C 000003C0
	buffer_load_dwordx4 v31, s[20:23], 0 offen offset:320 lds  // 000000007800: E05D1140 8005001F
	s_add_i32 m0, m0, 0x3c0                                    // 000000007808: 817CFF7C 000003C0
	buffer_load_dwordx4 v31, s[20:23], 0 offen offset:384 lds  // 000000007810: E05D1180 8005001F
	s_add_i32 m0, m0, 0x3c0                                    // 000000007818: 817CFF7C 000003C0
	buffer_load_dwordx4 v31, s[20:23], 0 offen offset:448 lds  // 000000007820: E05D11C0 8005001F
	s_add_i32 m0, m0, 0x3c0                                    // 000000007828: 817CFF7C 000003C0
	buffer_load_dwordx4 v31, s[20:23], 0 offen offset:512 lds  // 000000007830: E05D1200 8005001F
	s_add_i32 m0, m0, 0x3c0                                    // 000000007838: 817CFF7C 000003C0
	ds_read_b128 a[128:131], v20 offset:25600                  // 000000007840: DBFE6400 80000014
	ds_read_b128 a[132:135], v21 offset:25600                  // 000000007848: DBFE6400 84000015
	ds_read_b128 a[136:139], v20 offset:26624                  // 000000007850: DBFE6800 88000014
	ds_read_b128 a[140:143], v21 offset:26624                  // 000000007858: DBFE6800 8C000015
	v_add_u32_e32 v27, s73, v27                                // 000000007860: 68363649
	s_waitcnt lgkmcnt(4)                                       // 000000007864: BF8CC47F
	v_mfma_f32_32x32x64_f8f6f4 v[48:63], a[72:79], a[0:7], 0   // 000000007868: D3AE0030 1A020148
	v_mfma_f32_32x32x64_f8f6f4 v[48:63], a[80:87], a[8:15], v[48:63]// 000000007870: D3AE0030 1CC21150
	v_mfma_f32_32x32x64_f8f6f4 v[48:63], a[88:95], a[16:23], v[48:63]// 000000007878: D3AE0030 1CC22158
	ds_read_b64_tr_b8 a[72:73], v9                             // 000000007880: DBC40000 48000009
	ds_read_b64_tr_b8 a[74:75], v10                            // 000000007888: DBC40000 4A00000A
	ds_read_b64_tr_b8 a[76:77], v9 offset:18432                // 000000007890: DBC44800 4C000009
	ds_read_b64_tr_b8 a[78:79], v10 offset:18432               // 000000007898: DBC44800 4E00000A
	v_mfma_f32_32x32x64_f8f6f4 v[48:63], a[96:103], a[24:31], v[48:63]// 0000000078A0: D3AE0030 1CC23160
	ds_read_b64_tr_b8 a[80:81], v11                            // 0000000078A8: DBC40000 5000000B
	ds_read_b64_tr_b8 a[82:83], v12                            // 0000000078B0: DBC40000 5200000C
	ds_read_b64_tr_b8 a[84:85], v11 offset:18432               // 0000000078B8: DBC44800 5400000B
	ds_read_b64_tr_b8 a[86:87], v12 offset:18432               // 0000000078C0: DBC44800 5600000C
	v_mfma_f32_32x32x64_f8f6f4 v[48:63], a[104:111], a[32:39], v[48:63]// 0000000078C8: D3AE0030 1CC24168
	ds_read_b64_tr_b8 a[88:89], v9 offset:1024                 // 0000000078D0: DBC40400 58000009
	ds_read_b64_tr_b8 a[90:91], v10 offset:1024                // 0000000078D8: DBC40400 5A00000A
	ds_read_b64_tr_b8 a[92:93], v9 offset:19456                // 0000000078E0: DBC44C00 5C000009
	ds_read_b64_tr_b8 a[94:95], v10 offset:19456               // 0000000078E8: DBC44C00 5E00000A
	v_mfma_f32_32x32x64_f8f6f4 v[48:63], a[112:119], a[40:47], v[48:63]// 0000000078F0: D3AE0030 1CC25170
	ds_read_b64_tr_b8 a[96:97], v11 offset:1024                // 0000000078F8: DBC40400 6000000B
	ds_read_b64_tr_b8 a[98:99], v12 offset:1024                // 000000007900: DBC40400 6200000C
	ds_read_b64_tr_b8 a[100:101], v11 offset:19456             // 000000007908: DBC44C00 6400000B
	ds_read_b64_tr_b8 a[102:103], v12 offset:19456             // 000000007910: DBC44C00 6600000C
	v_mfma_f32_32x32x64_f8f6f4 v[48:63], a[120:127], a[48:55], v[48:63]// 000000007918: D3AE0030 1CC26178
	ds_read_b64_tr_b8 a[104:105], v9 offset:2048               // 000000007920: DBC40800 68000009
	ds_read_b64_tr_b8 a[106:107], v10 offset:2048              // 000000007928: DBC40800 6A00000A
	ds_read_b64_tr_b8 a[108:109], v9 offset:20480              // 000000007930: DBC45000 6C000009
	ds_read_b64_tr_b8 a[110:111], v10 offset:20480             // 000000007938: DBC45000 6E00000A
	v_mfma_f32_32x32x64_f8f6f4 v[48:63], a[128:135], a[56:63], v[48:63]// 000000007940: D3AE0030 1CC27180
	ds_read_b64_tr_b8 a[112:113], v11 offset:2048              // 000000007948: DBC40800 7000000B
	ds_read_b64_tr_b8 a[114:115], v12 offset:2048              // 000000007950: DBC40800 7200000C
	ds_read_b64_tr_b8 a[116:117], v11 offset:20480             // 000000007958: DBC45000 7400000B
	ds_read_b64_tr_b8 a[118:119], v12 offset:20480             // 000000007960: DBC45000 7600000C
	v_mfma_f32_32x32x64_f8f6f4 v[48:63], a[136:143], a[64:71], v[48:63]// 000000007968: D3AE0030 1CC28188
	ds_read_b64_tr_b8 a[120:121], v9 offset:3072               // 000000007970: DBC40C00 78000009
	ds_read_b64_tr_b8 a[122:123], v10 offset:3072              // 000000007978: DBC40C00 7A00000A
	ds_read_b64_tr_b8 a[124:125], v9 offset:21504              // 000000007980: DBC45400 7C000009
	ds_read_b64_tr_b8 a[126:127], v10 offset:21504             // 000000007988: DBC45400 7E00000A
	ds_read_b64_tr_b8 a[128:129], v11 offset:3072              // 000000007990: DBC40C00 8000000B
	ds_read_b64_tr_b8 a[130:131], v12 offset:3072              // 000000007998: DBC40C00 8200000C
	ds_read_b64_tr_b8 a[132:133], v11 offset:21504             // 0000000079A0: DBC45400 8400000B
	ds_read_b64_tr_b8 a[134:135], v12 offset:21504             // 0000000079A8: DBC45400 8600000C
	s_cmp_le_i32 s83, s82                                      // 0000000079B0: BF055253
	s_cbranch_scc1 label_5908                                  // 0000000079B4: BF8500D4
	v_mov_b32_e32 v28, s82                                     // 0000000079B8: 7E380252
	s_cmp_eq_i32 s81, 1                                        // 0000000079BC: BF008151
	s_cbranch_scc1 label_55E4                                  // 0000000079C0: BF850008
	s_cmp_eq_i32 s81, 2                                        // 0000000079C4: BF008251
	s_cbranch_scc1 label_55D8                                  // 0000000079C8: BF850003
	v_add_i32 v28, s7, v28                                     // 0000000079CC: D29C001C 00023807
	s_branch label_55E4                                        // 0000000079D4: BF820003

00000000000079d8 <label_55D8>:
	s_lshr_b32 s56, s7, 1                                      // 0000000079D8: 8F388107
	v_add_u32_e32 v28, s56, v28                                // 0000000079DC: 68383838
	s_branch label_55E4                                        // 0000000079E0: BF820000

00000000000079e4 <label_55E4>:
	s_sub_u32 s56, s83, 63                                     // 0000000079E4: 80B8BF53
	v_lshrrev_b32_e32 v223, 5, v0                              // 0000000079E8: 21BE0085
	v_mul_i32_i24_e32 v223, 4, v223                            // 0000000079EC: 0DBFBE84
	v_add_u32_e32 v223, s56, v223                              // 0000000079F0: 69BFBE38
	v_add_u32_e32 v224, 1, v223                                // 0000000079F4: 69C1BE81
	v_add_u32_e32 v225, 2, v223                                // 0000000079F8: 69C3BE82
	v_add_u32_e32 v226, 3, v223                                // 0000000079FC: 69C5BE83
	v_mov_b32_e32 v31, 0xff800000                              // 000000007A00: 7E3E02FF FF800000
	v_cmp_le_i32_e64 s[36:37], v223, v28                       // 000000007A08: D0C30024 000239DF
	s_nop 0                                                    // 000000007A10: BF800000
	v_cndmask_b32_e64 v32, v31, v32, s[36:37]                  // 000000007A14: D1000020 0092411F
	v_add_u32_e32 v223, 8, v223                                // 000000007A1C: 69BFBE88
	v_cmp_le_i32_e64 s[36:37], v224, v28                       // 000000007A20: D0C30024 000239E0
	s_nop 0                                                    // 000000007A28: BF800000
	v_cndmask_b32_e64 v33, v31, v33, s[36:37]                  // 000000007A2C: D1000021 0092431F
	v_add_u32_e32 v224, 8, v224                                // 000000007A34: 69C1C088
	v_cmp_le_i32_e64 s[36:37], v225, v28                       // 000000007A38: D0C30024 000239E1
	s_nop 0                                                    // 000000007A40: BF800000
	v_cndmask_b32_e64 v34, v31, v34, s[36:37]                  // 000000007A44: D1000022 0092451F
	v_add_u32_e32 v225, 8, v225                                // 000000007A4C: 69C3C288
	v_cmp_le_i32_e64 s[36:37], v226, v28                       // 000000007A50: D0C30024 000239E2
	s_nop 0                                                    // 000000007A58: BF800000
	v_cndmask_b32_e64 v35, v31, v35, s[36:37]                  // 000000007A5C: D1000023 0092471F
	v_add_u32_e32 v226, 8, v226                                // 000000007A64: 69C5C488
	v_cmp_le_i32_e64 s[36:37], v223, v28                       // 000000007A68: D0C30024 000239DF
	s_nop 0                                                    // 000000007A70: BF800000
	v_cndmask_b32_e64 v36, v31, v36, s[36:37]                  // 000000007A74: D1000024 0092491F
	v_add_u32_e32 v223, 8, v223                                // 000000007A7C: 69BFBE88
	v_cmp_le_i32_e64 s[36:37], v224, v28                       // 000000007A80: D0C30024 000239E0
	s_nop 0                                                    // 000000007A88: BF800000
	v_cndmask_b32_e64 v37, v31, v37, s[36:37]                  // 000000007A8C: D1000025 00924B1F
	v_add_u32_e32 v224, 8, v224                                // 000000007A94: 69C1C088
	v_cmp_le_i32_e64 s[36:37], v225, v28                       // 000000007A98: D0C30024 000239E1
	s_nop 0                                                    // 000000007AA0: BF800000
	v_cndmask_b32_e64 v38, v31, v38, s[36:37]                  // 000000007AA4: D1000026 00924D1F
	v_add_u32_e32 v225, 8, v225                                // 000000007AAC: 69C3C288
	v_cmp_le_i32_e64 s[36:37], v226, v28                       // 000000007AB0: D0C30024 000239E2
	s_nop 0                                                    // 000000007AB8: BF800000
	v_cndmask_b32_e64 v39, v31, v39, s[36:37]                  // 000000007ABC: D1000027 00924F1F
	v_add_u32_e32 v226, 8, v226                                // 000000007AC4: 69C5C488
	v_cmp_le_i32_e64 s[36:37], v223, v28                       // 000000007AC8: D0C30024 000239DF
	s_nop 0                                                    // 000000007AD0: BF800000
	v_cndmask_b32_e64 v40, v31, v40, s[36:37]                  // 000000007AD4: D1000028 0092511F
	v_add_u32_e32 v223, 8, v223                                // 000000007ADC: 69BFBE88
	v_cmp_le_i32_e64 s[36:37], v224, v28                       // 000000007AE0: D0C30024 000239E0
	s_nop 0                                                    // 000000007AE8: BF800000
	v_cndmask_b32_e64 v41, v31, v41, s[36:37]                  // 000000007AEC: D1000029 0092531F
	v_add_u32_e32 v224, 8, v224                                // 000000007AF4: 69C1C088
	v_cmp_le_i32_e64 s[36:37], v225, v28                       // 000000007AF8: D0C30024 000239E1
	s_nop 0                                                    // 000000007B00: BF800000
	v_cndmask_b32_e64 v42, v31, v42, s[36:37]                  // 000000007B04: D100002A 0092551F
	v_add_u32_e32 v225, 8, v225                                // 000000007B0C: 69C3C288
	v_cmp_le_i32_e64 s[36:37], v226, v28                       // 000000007B10: D0C30024 000239E2
	s_nop 0                                                    // 000000007B18: BF800000
	v_cndmask_b32_e64 v43, v31, v43, s[36:37]                  // 000000007B1C: D100002B 0092571F
	v_add_u32_e32 v226, 8, v226                                // 000000007B24: 69C5C488
	v_cmp_le_i32_e64 s[36:37], v223, v28                       // 000000007B28: D0C30024 000239DF
	s_nop 0                                                    // 000000007B30: BF800000
	v_cndmask_b32_e64 v44, v31, v44, s[36:37]                  // 000000007B34: D100002C 0092591F
	v_add_u32_e32 v223, 8, v223                                // 000000007B3C: 69BFBE88
	v_cmp_le_i32_e64 s[36:37], v224, v28                       // 000000007B40: D0C30024 000239E0
	s_nop 0                                                    // 000000007B48: BF800000
	v_cndmask_b32_e64 v45, v31, v45, s[36:37]                  // 000000007B4C: D100002D 00925B1F
	v_add_u32_e32 v224, 8, v224                                // 000000007B54: 69C1C088
	v_cmp_le_i32_e64 s[36:37], v225, v28                       // 000000007B58: D0C30024 000239E1
	s_nop 0                                                    // 000000007B60: BF800000
	v_cndmask_b32_e64 v46, v31, v46, s[36:37]                  // 000000007B64: D100002E 00925D1F
	v_add_u32_e32 v225, 8, v225                                // 000000007B6C: 69C3C288
	v_cmp_le_i32_e64 s[36:37], v226, v28                       // 000000007B70: D0C30024 000239E2
	s_nop 0                                                    // 000000007B78: BF800000
	v_cndmask_b32_e64 v47, v31, v47, s[36:37]                  // 000000007B7C: D100002F 00925F1F
	v_add_u32_e32 v226, 8, v226                                // 000000007B84: 69C5C488
	v_cmp_le_i32_e64 s[36:37], v223, v28                       // 000000007B88: D0C30024 000239DF
	s_nop 0                                                    // 000000007B90: BF800000
	v_cndmask_b32_e64 v48, v31, v48, s[36:37]                  // 000000007B94: D1000030 0092611F
	v_add_u32_e32 v223, 8, v223                                // 000000007B9C: 69BFBE88
	v_cmp_le_i32_e64 s[36:37], v224, v28                       // 000000007BA0: D0C30024 000239E0
	s_nop 0                                                    // 000000007BA8: BF800000
	v_cndmask_b32_e64 v49, v31, v49, s[36:37]                  // 000000007BAC: D1000031 0092631F
	v_add_u32_e32 v224, 8, v224                                // 000000007BB4: 69C1C088
	v_cmp_le_i32_e64 s[36:37], v225, v28                       // 000000007BB8: D0C30024 000239E1
	s_nop 0                                                    // 000000007BC0: BF800000
	v_cndmask_b32_e64 v50, v31, v50, s[36:37]                  // 000000007BC4: D1000032 0092651F
	v_add_u32_e32 v225, 8, v225                                // 000000007BCC: 69C3C288
	v_cmp_le_i32_e64 s[36:37], v226, v28                       // 000000007BD0: D0C30024 000239E2
	s_nop 0                                                    // 000000007BD8: BF800000
	v_cndmask_b32_e64 v51, v31, v51, s[36:37]                  // 000000007BDC: D1000033 0092671F
	v_add_u32_e32 v226, 8, v226                                // 000000007BE4: 69C5C488
	v_cmp_le_i32_e64 s[36:37], v223, v28                       // 000000007BE8: D0C30024 000239DF
	s_nop 0                                                    // 000000007BF0: BF800000
	v_cndmask_b32_e64 v52, v31, v52, s[36:37]                  // 000000007BF4: D1000034 0092691F
	v_add_u32_e32 v223, 8, v223                                // 000000007BFC: 69BFBE88
	v_cmp_le_i32_e64 s[36:37], v224, v28                       // 000000007C00: D0C30024 000239E0
	s_nop 0                                                    // 000000007C08: BF800000
	v_cndmask_b32_e64 v53, v31, v53, s[36:37]                  // 000000007C0C: D1000035 00926B1F
	v_add_u32_e32 v224, 8, v224                                // 000000007C14: 69C1C088
	v_cmp_le_i32_e64 s[36:37], v225, v28                       // 000000007C18: D0C30024 000239E1
	s_nop 0                                                    // 000000007C20: BF800000
	v_cndmask_b32_e64 v54, v31, v54, s[36:37]                  // 000000007C24: D1000036 00926D1F
	v_add_u32_e32 v225, 8, v225                                // 000000007C2C: 69C3C288
	v_cmp_le_i32_e64 s[36:37], v226, v28                       // 000000007C30: D0C30024 000239E2
	s_nop 0                                                    // 000000007C38: BF800000
	v_cndmask_b32_e64 v55, v31, v55, s[36:37]                  // 000000007C3C: D1000037 00926F1F
	v_add_u32_e32 v226, 8, v226                                // 000000007C44: 69C5C488
	v_cmp_le_i32_e64 s[36:37], v223, v28                       // 000000007C48: D0C30024 000239DF
	s_nop 0                                                    // 000000007C50: BF800000
	v_cndmask_b32_e64 v56, v31, v56, s[36:37]                  // 000000007C54: D1000038 0092711F
	v_add_u32_e32 v223, 8, v223                                // 000000007C5C: 69BFBE88
	v_cmp_le_i32_e64 s[36:37], v224, v28                       // 000000007C60: D0C30024 000239E0
	s_nop 0                                                    // 000000007C68: BF800000
	v_cndmask_b32_e64 v57, v31, v57, s[36:37]                  // 000000007C6C: D1000039 0092731F
	v_add_u32_e32 v224, 8, v224                                // 000000007C74: 69C1C088
	v_cmp_le_i32_e64 s[36:37], v225, v28                       // 000000007C78: D0C30024 000239E1
	s_nop 0                                                    // 000000007C80: BF800000
	v_cndmask_b32_e64 v58, v31, v58, s[36:37]                  // 000000007C84: D100003A 0092751F
	v_add_u32_e32 v225, 8, v225                                // 000000007C8C: 69C3C288
	v_cmp_le_i32_e64 s[36:37], v226, v28                       // 000000007C90: D0C30024 000239E2
	s_nop 0                                                    // 000000007C98: BF800000
	v_cndmask_b32_e64 v59, v31, v59, s[36:37]                  // 000000007C9C: D100003B 0092771F
	v_add_u32_e32 v226, 8, v226                                // 000000007CA4: 69C5C488
	v_cmp_le_i32_e64 s[36:37], v223, v28                       // 000000007CA8: D0C30024 000239DF
	s_nop 0                                                    // 000000007CB0: BF800000
	v_cndmask_b32_e64 v60, v31, v60, s[36:37]                  // 000000007CB4: D100003C 0092791F
	v_add_u32_e32 v223, 8, v223                                // 000000007CBC: 69BFBE88
	v_cmp_le_i32_e64 s[36:37], v224, v28                       // 000000007CC0: D0C30024 000239E0
	s_nop 0                                                    // 000000007CC8: BF800000
	v_cndmask_b32_e64 v61, v31, v61, s[36:37]                  // 000000007CCC: D100003D 00927B1F
	v_add_u32_e32 v224, 8, v224                                // 000000007CD4: 69C1C088
	v_cmp_le_i32_e64 s[36:37], v225, v28                       // 000000007CD8: D0C30024 000239E1
	s_nop 0                                                    // 000000007CE0: BF800000
	v_cndmask_b32_e64 v62, v31, v62, s[36:37]                  // 000000007CE4: D100003E 00927D1F
	v_add_u32_e32 v225, 8, v225                                // 000000007CEC: 69C3C288
	v_cmp_le_i32_e64 s[36:37], v226, v28                       // 000000007CF0: D0C30024 000239E2
	s_nop 0                                                    // 000000007CF8: BF800000
	v_cndmask_b32_e64 v63, v31, v63, s[36:37]                  // 000000007CFC: D100003F 00927F1F
	v_add_u32_e32 v226, 8, v226                                // 000000007D04: 69C5C488

0000000000007d08 <label_5908>:
	s_add_u32 s83, s84, s83                                    // 000000007D08: 80535354
	s_nop 2                                                    // 000000007D0C: BF800002
	v_mov_b32_e32 v29, v32                                     // 000000007D10: 7E3A0320
	v_max3_f32 v29, v32, v33, v29                              // 000000007D14: D1D3001D 04764320
	v_max3_f32 v29, v34, v35, v29                              // 000000007D1C: D1D3001D 04764722
	v_max3_f32 v29, v36, v37, v29                              // 000000007D24: D1D3001D 04764B24
	v_max3_f32 v29, v38, v39, v29                              // 000000007D2C: D1D3001D 04764F26
	v_max3_f32 v29, v40, v41, v29                              // 000000007D34: D1D3001D 04765328
	v_max3_f32 v29, v42, v43, v29                              // 000000007D3C: D1D3001D 0476572A
	v_max3_f32 v29, v44, v45, v29                              // 000000007D44: D1D3001D 04765B2C
	v_max3_f32 v29, v46, v47, v29                              // 000000007D4C: D1D3001D 04765F2E
	v_max3_f32 v29, v48, v49, v29                              // 000000007D54: D1D3001D 04766330
	v_max3_f32 v29, v50, v51, v29                              // 000000007D5C: D1D3001D 04766732
	v_max3_f32 v29, v52, v53, v29                              // 000000007D64: D1D3001D 04766B34
	v_max3_f32 v29, v54, v55, v29                              // 000000007D6C: D1D3001D 04766F36
	v_max3_f32 v29, v56, v57, v29                              // 000000007D74: D1D3001D 04767338
	v_max3_f32 v29, v58, v59, v29                              // 000000007D7C: D1D3001D 0476773A
	v_max3_f32 v29, v60, v61, v29                              // 000000007D84: D1D3001D 04767B3C
	v_max3_f32 v29, v62, v63, v29                              // 000000007D8C: D1D3001D 04767F3E
	v_mov_b32_e32 v28, v29                                     // 000000007D94: 7E38031D
	v_mov_b32_e32 v29, v29                                     // 000000007D98: 7E3A031D
	s_nop 1                                                    // 000000007D9C: BF800001
	v_permlane32_swap_b32_e32 v28, v29                         // 000000007DA0: 7E38B51D
	v_max3_f32 v29, v28, v29, v29                              // 000000007DA4: D1D3001D 04763B1C
	v_mov_b32_e32 v28, 0xff800000                              // 000000007DAC: 7E3802FF FF800000
	v_cmp_eq_u32_e64 s[36:37], v28, v2                         // 000000007DB4: D0CA0024 0002051C
	v_max_f32_e32 v29, v29, v2                                 // 000000007DBC: 163A051D
	v_sub_f32_e32 v17, v2, v29                                 // 000000007DC0: 04223B02
	v_cndmask_b32_e64 v17, v17, 0, s[36:37]                    // 000000007DC4: D1000011 00910111
	v_mov_b32_e32 v2, v29                                      // 000000007DCC: 7E04031D
	v_mul_f32_e32 v29, s5, v29                                 // 000000007DD0: 0A3A3A05
	v_mul_f32_e32 v17, s5, v17                                 // 000000007DD4: 0A222205
	v_exp_f32_e32 v17, v17                                     // 000000007DD8: 7E224111
	v_fma_f32 v32, v32, s5, -v29                               // 000000007DDC: D1CB0020 84740B20
	v_fma_f32 v33, v33, s5, -v29                               // 000000007DE4: D1CB0021 84740B21
	v_fma_f32 v34, v34, s5, -v29                               // 000000007DEC: D1CB0022 84740B22
	v_fma_f32 v35, v35, s5, -v29                               // 000000007DF4: D1CB0023 84740B23
	v_fma_f32 v36, v36, s5, -v29                               // 000000007DFC: D1CB0024 84740B24
	v_fma_f32 v37, v37, s5, -v29                               // 000000007E04: D1CB0025 84740B25
	v_fma_f32 v38, v38, s5, -v29                               // 000000007E0C: D1CB0026 84740B26
	v_fma_f32 v39, v39, s5, -v29                               // 000000007E14: D1CB0027 84740B27
	v_fma_f32 v40, v40, s5, -v29                               // 000000007E1C: D1CB0028 84740B28
	v_fma_f32 v41, v41, s5, -v29                               // 000000007E24: D1CB0029 84740B29
	v_fma_f32 v42, v42, s5, -v29                               // 000000007E2C: D1CB002A 84740B2A
	v_fma_f32 v43, v43, s5, -v29                               // 000000007E34: D1CB002B 84740B2B
	v_fma_f32 v44, v44, s5, -v29                               // 000000007E3C: D1CB002C 84740B2C
	v_fma_f32 v45, v45, s5, -v29                               // 000000007E44: D1CB002D 84740B2D
	v_fma_f32 v46, v46, s5, -v29                               // 000000007E4C: D1CB002E 84740B2E
	v_fma_f32 v47, v47, s5, -v29                               // 000000007E54: D1CB002F 84740B2F
	v_fma_f32 v48, v48, s5, -v29                               // 000000007E5C: D1CB0030 84740B30
	v_fma_f32 v49, v49, s5, -v29                               // 000000007E64: D1CB0031 84740B31
	v_fma_f32 v50, v50, s5, -v29                               // 000000007E6C: D1CB0032 84740B32
	v_fma_f32 v51, v51, s5, -v29                               // 000000007E74: D1CB0033 84740B33
	v_fma_f32 v52, v52, s5, -v29                               // 000000007E7C: D1CB0034 84740B34
	v_fma_f32 v53, v53, s5, -v29                               // 000000007E84: D1CB0035 84740B35
	v_fma_f32 v54, v54, s5, -v29                               // 000000007E8C: D1CB0036 84740B36
	v_fma_f32 v55, v55, s5, -v29                               // 000000007E94: D1CB0037 84740B37
	v_fma_f32 v56, v56, s5, -v29                               // 000000007E9C: D1CB0038 84740B38
	v_fma_f32 v57, v57, s5, -v29                               // 000000007EA4: D1CB0039 84740B39
	v_fma_f32 v58, v58, s5, -v29                               // 000000007EAC: D1CB003A 84740B3A
	v_fma_f32 v59, v59, s5, -v29                               // 000000007EB4: D1CB003B 84740B3B
	v_fma_f32 v60, v60, s5, -v29                               // 000000007EBC: D1CB003C 84740B3C
	v_fma_f32 v61, v61, s5, -v29                               // 000000007EC4: D1CB003D 84740B3D
	v_fma_f32 v62, v62, s5, -v29                               // 000000007ECC: D1CB003E 84740B3E
	v_fma_f32 v63, v63, s5, -v29                               // 000000007ED4: D1CB003F 84740B3F
	v_exp_f32_e32 v32, v32                                     // 000000007EDC: 7E404120
	v_exp_f32_e32 v33, v33                                     // 000000007EE0: 7E424121
	v_exp_f32_e32 v34, v34                                     // 000000007EE4: 7E444122
	v_exp_f32_e32 v35, v35                                     // 000000007EE8: 7E464123
	v_exp_f32_e32 v36, v36                                     // 000000007EEC: 7E484124
	v_exp_f32_e32 v37, v37                                     // 000000007EF0: 7E4A4125
	v_exp_f32_e32 v38, v38                                     // 000000007EF4: 7E4C4126
	v_exp_f32_e32 v39, v39                                     // 000000007EF8: 7E4E4127
	v_exp_f32_e32 v40, v40                                     // 000000007EFC: 7E504128
	v_exp_f32_e32 v41, v41                                     // 000000007F00: 7E524129
	v_exp_f32_e32 v42, v42                                     // 000000007F04: 7E54412A
	v_exp_f32_e32 v43, v43                                     // 000000007F08: 7E56412B
	v_exp_f32_e32 v44, v44                                     // 000000007F0C: 7E58412C
	v_exp_f32_e32 v45, v45                                     // 000000007F10: 7E5A412D
	v_exp_f32_e32 v46, v46                                     // 000000007F14: 7E5C412E
	v_exp_f32_e32 v47, v47                                     // 000000007F18: 7E5E412F
	v_exp_f32_e32 v48, v48                                     // 000000007F1C: 7E604130
	v_exp_f32_e32 v49, v49                                     // 000000007F20: 7E624131
	v_exp_f32_e32 v50, v50                                     // 000000007F24: 7E644132
	v_exp_f32_e32 v51, v51                                     // 000000007F28: 7E664133
	v_exp_f32_e32 v52, v52                                     // 000000007F2C: 7E684134
	v_exp_f32_e32 v53, v53                                     // 000000007F30: 7E6A4135
	v_exp_f32_e32 v54, v54                                     // 000000007F34: 7E6C4136
	v_exp_f32_e32 v55, v55                                     // 000000007F38: 7E6E4137
	v_exp_f32_e32 v56, v56                                     // 000000007F3C: 7E704138
	v_exp_f32_e32 v57, v57                                     // 000000007F40: 7E724139
	v_exp_f32_e32 v58, v58                                     // 000000007F44: 7E74413A
	v_exp_f32_e32 v59, v59                                     // 000000007F48: 7E76413B
	v_exp_f32_e32 v60, v60                                     // 000000007F4C: 7E78413C
	v_exp_f32_e32 v61, v61                                     // 000000007F50: 7E7A413D
	v_exp_f32_e32 v62, v62                                     // 000000007F54: 7E7C413E
	v_exp_f32_e32 v63, v63                                     // 000000007F58: 7E7E413F
	v_mul_f32_e32 v4, v17, v4                                  // 000000007F5C: 0A080911
	v_mov_b32_e32 v28, v32                                     // 000000007F60: 7E380320
	v_add_f32_e32 v28, v33, v28                                // 000000007F64: 02383921
	v_add_f32_e32 v28, v34, v28                                // 000000007F68: 02383922
	v_add_f32_e32 v28, v35, v28                                // 000000007F6C: 02383923
	v_add_f32_e32 v28, v36, v28                                // 000000007F70: 02383924
	v_add_f32_e32 v28, v37, v28                                // 000000007F74: 02383925
	v_add_f32_e32 v28, v38, v28                                // 000000007F78: 02383926
	v_add_f32_e32 v28, v39, v28                                // 000000007F7C: 02383927
	v_add_f32_e32 v28, v40, v28                                // 000000007F80: 02383928
	v_add_f32_e32 v28, v41, v28                                // 000000007F84: 02383929
	v_add_f32_e32 v28, v42, v28                                // 000000007F88: 0238392A
	v_add_f32_e32 v28, v43, v28                                // 000000007F8C: 0238392B
	v_add_f32_e32 v28, v44, v28                                // 000000007F90: 0238392C
	v_add_f32_e32 v28, v45, v28                                // 000000007F94: 0238392D
	v_add_f32_e32 v28, v46, v28                                // 000000007F98: 0238392E
	v_add_f32_e32 v28, v47, v28                                // 000000007F9C: 0238392F
	v_add_f32_e32 v28, v48, v28                                // 000000007FA0: 02383930
	v_add_f32_e32 v28, v49, v28                                // 000000007FA4: 02383931
	v_add_f32_e32 v28, v50, v28                                // 000000007FA8: 02383932
	v_add_f32_e32 v28, v51, v28                                // 000000007FAC: 02383933
	v_add_f32_e32 v28, v52, v28                                // 000000007FB0: 02383934
	v_add_f32_e32 v28, v53, v28                                // 000000007FB4: 02383935
	v_add_f32_e32 v28, v54, v28                                // 000000007FB8: 02383936
	v_add_f32_e32 v28, v55, v28                                // 000000007FBC: 02383937
	v_add_f32_e32 v28, v56, v28                                // 000000007FC0: 02383938
	v_add_f32_e32 v28, v57, v28                                // 000000007FC4: 02383939
	v_add_f32_e32 v28, v58, v28                                // 000000007FC8: 0238393A
	v_add_f32_e32 v28, v59, v28                                // 000000007FCC: 0238393B
	v_add_f32_e32 v28, v60, v28                                // 000000007FD0: 0238393C
	v_add_f32_e32 v28, v61, v28                                // 000000007FD4: 0238393D
	v_add_f32_e32 v28, v62, v28                                // 000000007FD8: 0238393E
	v_add_f32_e32 v28, v63, v28                                // 000000007FDC: 0238393F
	v_add_f32_e32 v4, v28, v4                                  // 000000007FE0: 0208091C
	v_cvt_pk_fp8_f32 v32, v32, v33                             // 000000007FE4: D2A20020 00024320
	v_cvt_pk_fp8_f32 v32, v34, v35 op_sel:[0,0,1]              // 000000007FEC: D2A24020 00024722
	v_cvt_pk_fp8_f32 v33, v36, v37                             // 000000007FF4: D2A20021 00024B24
	v_cvt_pk_fp8_f32 v33, v38, v39 op_sel:[0,0,1]              // 000000007FFC: D2A24021 00024F26
	v_cvt_pk_fp8_f32 v34, v40, v41                             // 000000008004: D2A20022 00025328
	v_cvt_pk_fp8_f32 v34, v42, v43 op_sel:[0,0,1]              // 00000000800C: D2A24022 0002572A
	v_cvt_pk_fp8_f32 v35, v44, v45                             // 000000008014: D2A20023 00025B2C
	v_cvt_pk_fp8_f32 v35, v46, v47 op_sel:[0,0,1]              // 00000000801C: D2A24023 00025F2E
	v_cvt_pk_fp8_f32 v36, v48, v49                             // 000000008024: D2A20024 00026330
	v_cvt_pk_fp8_f32 v36, v50, v51 op_sel:[0,0,1]              // 00000000802C: D2A24024 00026732
	v_cvt_pk_fp8_f32 v37, v52, v53                             // 000000008034: D2A20025 00026B34
	v_cvt_pk_fp8_f32 v37, v54, v55 op_sel:[0,0,1]              // 00000000803C: D2A24025 00026F36
	v_cvt_pk_fp8_f32 v38, v56, v57                             // 000000008044: D2A20026 00027338
	v_cvt_pk_fp8_f32 v38, v58, v59 op_sel:[0,0,1]              // 00000000804C: D2A24026 0002773A
	v_cvt_pk_fp8_f32 v39, v60, v61                             // 000000008054: D2A20027 00027B3C
	v_cvt_pk_fp8_f32 v39, v62, v63 op_sel:[0,0,1]              // 00000000805C: D2A24027 00027F3E
	v_permlane32_swap_b32_e32 v32, v34                         // 000000008064: 7E40B522
	v_permlane32_swap_b32_e32 v33, v35                         // 000000008068: 7E42B523
	v_swap_b32 v33, v34                                        // 00000000806C: 7E42A322
	v_permlane32_swap_b32_e32 v36, v38                         // 000000008070: 7E48B526
	v_permlane32_swap_b32_e32 v37, v39                         // 000000008074: 7E4AB527
	v_swap_b32 v37, v38                                        // 000000008078: 7E4AA326
	v_mov_b32_e32 v28, v17                                     // 00000000807C: 7E380311
	v_mul_f32_e32 v64, v28, v64                                // 000000008080: 0A80811C
	v_mul_f32_e32 v65, v28, v65                                // 000000008084: 0A82831C
	v_mul_f32_e32 v66, v28, v66                                // 000000008088: 0A84851C
	v_mul_f32_e32 v67, v28, v67                                // 00000000808C: 0A86871C
	v_mul_f32_e32 v68, v28, v68                                // 000000008090: 0A88891C
	v_mul_f32_e32 v69, v28, v69                                // 000000008094: 0A8A8B1C
	v_mul_f32_e32 v70, v28, v70                                // 000000008098: 0A8C8D1C
	v_mul_f32_e32 v71, v28, v71                                // 00000000809C: 0A8E8F1C
	v_mul_f32_e32 v72, v28, v72                                // 0000000080A0: 0A90911C
	v_mul_f32_e32 v73, v28, v73                                // 0000000080A4: 0A92931C
	v_mul_f32_e32 v74, v28, v74                                // 0000000080A8: 0A94951C
	v_mul_f32_e32 v75, v28, v75                                // 0000000080AC: 0A96971C
	v_mul_f32_e32 v76, v28, v76                                // 0000000080B0: 0A98991C
	v_mul_f32_e32 v77, v28, v77                                // 0000000080B4: 0A9A9B1C
	v_mul_f32_e32 v78, v28, v78                                // 0000000080B8: 0A9C9D1C
	v_mul_f32_e32 v79, v28, v79                                // 0000000080BC: 0A9E9F1C
	v_mul_f32_e32 v80, v28, v80                                // 0000000080C0: 0AA0A11C
	v_mul_f32_e32 v81, v28, v81                                // 0000000080C4: 0AA2A31C
	v_mul_f32_e32 v82, v28, v82                                // 0000000080C8: 0AA4A51C
	v_mul_f32_e32 v83, v28, v83                                // 0000000080CC: 0AA6A71C
	v_mul_f32_e32 v84, v28, v84                                // 0000000080D0: 0AA8A91C
	v_mul_f32_e32 v85, v28, v85                                // 0000000080D4: 0AAAAB1C
	v_mul_f32_e32 v86, v28, v86                                // 0000000080D8: 0AACAD1C
	v_mul_f32_e32 v87, v28, v87                                // 0000000080DC: 0AAEAF1C
	v_mul_f32_e32 v88, v28, v88                                // 0000000080E0: 0AB0B11C
	v_mul_f32_e32 v89, v28, v89                                // 0000000080E4: 0AB2B31C
	v_mul_f32_e32 v90, v28, v90                                // 0000000080E8: 0AB4B51C
	v_mul_f32_e32 v91, v28, v91                                // 0000000080EC: 0AB6B71C
	v_mul_f32_e32 v92, v28, v92                                // 0000000080F0: 0AB8B91C
	v_mul_f32_e32 v93, v28, v93                                // 0000000080F4: 0ABABB1C
	v_mul_f32_e32 v94, v28, v94                                // 0000000080F8: 0ABCBD1C
	v_mul_f32_e32 v95, v28, v95                                // 0000000080FC: 0ABEBF1C
	v_mul_f32_e32 v96, v28, v96                                // 000000008100: 0AC0C11C
	v_mul_f32_e32 v97, v28, v97                                // 000000008104: 0AC2C31C
	v_mul_f32_e32 v98, v28, v98                                // 000000008108: 0AC4C51C
	v_mul_f32_e32 v99, v28, v99                                // 00000000810C: 0AC6C71C
	v_mul_f32_e32 v100, v28, v100                              // 000000008110: 0AC8C91C
	v_mul_f32_e32 v101, v28, v101                              // 000000008114: 0ACACB1C
	v_mul_f32_e32 v102, v28, v102                              // 000000008118: 0ACCCD1C
	v_mul_f32_e32 v103, v28, v103                              // 00000000811C: 0ACECF1C
	v_mul_f32_e32 v104, v28, v104                              // 000000008120: 0AD0D11C
	v_mul_f32_e32 v105, v28, v105                              // 000000008124: 0AD2D31C
	v_mul_f32_e32 v106, v28, v106                              // 000000008128: 0AD4D51C
	v_mul_f32_e32 v107, v28, v107                              // 00000000812C: 0AD6D71C
	v_mul_f32_e32 v108, v28, v108                              // 000000008130: 0AD8D91C
	v_mul_f32_e32 v109, v28, v109                              // 000000008134: 0ADADB1C
	v_mul_f32_e32 v110, v28, v110                              // 000000008138: 0ADCDD1C
	v_mul_f32_e32 v111, v28, v111                              // 00000000813C: 0ADEDF1C
	v_mul_f32_e32 v112, v28, v112                              // 000000008140: 0AE0E11C
	v_mul_f32_e32 v113, v28, v113                              // 000000008144: 0AE2E31C
	v_mul_f32_e32 v114, v28, v114                              // 000000008148: 0AE4E51C
	v_mul_f32_e32 v115, v28, v115                              // 00000000814C: 0AE6E71C
	v_mul_f32_e32 v116, v28, v116                              // 000000008150: 0AE8E91C
	v_mul_f32_e32 v117, v28, v117                              // 000000008154: 0AEAEB1C
	v_mul_f32_e32 v118, v28, v118                              // 000000008158: 0AECED1C
	v_mul_f32_e32 v119, v28, v119                              // 00000000815C: 0AEEEF1C
	v_mul_f32_e32 v120, v28, v120                              // 000000008160: 0AF0F11C
	v_mul_f32_e32 v121, v28, v121                              // 000000008164: 0AF2F31C
	v_mul_f32_e32 v122, v28, v122                              // 000000008168: 0AF4F51C
	v_mul_f32_e32 v123, v28, v123                              // 00000000816C: 0AF6F71C
	v_mul_f32_e32 v124, v28, v124                              // 000000008170: 0AF8F91C
	v_mul_f32_e32 v125, v28, v125                              // 000000008174: 0AFAFB1C
	v_mul_f32_e32 v126, v28, v126                              // 000000008178: 0AFCFD1C
	v_mul_f32_e32 v127, v28, v127                              // 00000000817C: 0AFEFF1C
	v_mul_f32_e32 v128, v28, v128                              // 000000008180: 0B01011C
	v_mul_f32_e32 v129, v28, v129                              // 000000008184: 0B03031C
	v_mul_f32_e32 v130, v28, v130                              // 000000008188: 0B05051C
	v_mul_f32_e32 v131, v28, v131                              // 00000000818C: 0B07071C
	v_mul_f32_e32 v132, v28, v132                              // 000000008190: 0B09091C
	v_mul_f32_e32 v133, v28, v133                              // 000000008194: 0B0B0B1C
	v_mul_f32_e32 v134, v28, v134                              // 000000008198: 0B0D0D1C
	v_mul_f32_e32 v135, v28, v135                              // 00000000819C: 0B0F0F1C
	v_mul_f32_e32 v136, v28, v136                              // 0000000081A0: 0B11111C
	v_mul_f32_e32 v137, v28, v137                              // 0000000081A4: 0B13131C
	v_mul_f32_e32 v138, v28, v138                              // 0000000081A8: 0B15151C
	v_mul_f32_e32 v139, v28, v139                              // 0000000081AC: 0B17171C
	v_mul_f32_e32 v140, v28, v140                              // 0000000081B0: 0B19191C
	v_mul_f32_e32 v141, v28, v141                              // 0000000081B4: 0B1B1B1C
	v_mul_f32_e32 v142, v28, v142                              // 0000000081B8: 0B1D1D1C
	v_mul_f32_e32 v143, v28, v143                              // 0000000081BC: 0B1F1F1C
	v_mul_f32_e32 v144, v28, v144                              // 0000000081C0: 0B21211C
	v_mul_f32_e32 v145, v28, v145                              // 0000000081C4: 0B23231C
	v_mul_f32_e32 v146, v28, v146                              // 0000000081C8: 0B25251C
	v_mul_f32_e32 v147, v28, v147                              // 0000000081CC: 0B27271C
	v_mul_f32_e32 v148, v28, v148                              // 0000000081D0: 0B29291C
	v_mul_f32_e32 v149, v28, v149                              // 0000000081D4: 0B2B2B1C
	v_mul_f32_e32 v150, v28, v150                              // 0000000081D8: 0B2D2D1C
	v_mul_f32_e32 v151, v28, v151                              // 0000000081DC: 0B2F2F1C
	v_mul_f32_e32 v152, v28, v152                              // 0000000081E0: 0B31311C
	v_mul_f32_e32 v153, v28, v153                              // 0000000081E4: 0B33331C
	v_mul_f32_e32 v154, v28, v154                              // 0000000081E8: 0B35351C
	v_mul_f32_e32 v155, v28, v155                              // 0000000081EC: 0B37371C
	v_mul_f32_e32 v156, v28, v156                              // 0000000081F0: 0B39391C
	v_mul_f32_e32 v157, v28, v157                              // 0000000081F4: 0B3B3B1C
	v_mul_f32_e32 v158, v28, v158                              // 0000000081F8: 0B3D3D1C
	v_mul_f32_e32 v159, v28, v159                              // 0000000081FC: 0B3F3F1C
	v_mul_f32_e32 v160, v28, v160                              // 000000008200: 0B41411C
	v_mul_f32_e32 v161, v28, v161                              // 000000008204: 0B43431C
	v_mul_f32_e32 v162, v28, v162                              // 000000008208: 0B45451C
	v_mul_f32_e32 v163, v28, v163                              // 00000000820C: 0B47471C
	v_mul_f32_e32 v164, v28, v164                              // 000000008210: 0B49491C
	v_mul_f32_e32 v165, v28, v165                              // 000000008214: 0B4B4B1C
	v_mul_f32_e32 v166, v28, v166                              // 000000008218: 0B4D4D1C
	v_mul_f32_e32 v167, v28, v167                              // 00000000821C: 0B4F4F1C
	v_mul_f32_e32 v168, v28, v168                              // 000000008220: 0B51511C
	v_mul_f32_e32 v169, v28, v169                              // 000000008224: 0B53531C
	v_mul_f32_e32 v170, v28, v170                              // 000000008228: 0B55551C
	v_mul_f32_e32 v171, v28, v171                              // 00000000822C: 0B57571C
	v_mul_f32_e32 v172, v28, v172                              // 000000008230: 0B59591C
	v_mul_f32_e32 v173, v28, v173                              // 000000008234: 0B5B5B1C
	v_mul_f32_e32 v174, v28, v174                              // 000000008238: 0B5D5D1C
	v_mul_f32_e32 v175, v28, v175                              // 00000000823C: 0B5F5F1C
	v_mul_f32_e32 v176, v28, v176                              // 000000008240: 0B61611C
	v_mul_f32_e32 v177, v28, v177                              // 000000008244: 0B63631C
	v_mul_f32_e32 v178, v28, v178                              // 000000008248: 0B65651C
	v_mul_f32_e32 v179, v28, v179                              // 00000000824C: 0B67671C
	v_mul_f32_e32 v180, v28, v180                              // 000000008250: 0B69691C
	v_mul_f32_e32 v181, v28, v181                              // 000000008254: 0B6B6B1C
	v_mul_f32_e32 v182, v28, v182                              // 000000008258: 0B6D6D1C
	v_mul_f32_e32 v183, v28, v183                              // 00000000825C: 0B6F6F1C
	v_mul_f32_e32 v184, v28, v184                              // 000000008260: 0B71711C
	v_mul_f32_e32 v185, v28, v185                              // 000000008264: 0B73731C
	v_mul_f32_e32 v186, v28, v186                              // 000000008268: 0B75751C
	v_mul_f32_e32 v187, v28, v187                              // 00000000826C: 0B77771C
	v_mul_f32_e32 v188, v28, v188                              // 000000008270: 0B79791C
	v_mul_f32_e32 v189, v28, v189                              // 000000008274: 0B7B7B1C
	v_mul_f32_e32 v190, v28, v190                              // 000000008278: 0B7D7D1C
	v_mul_f32_e32 v191, v28, v191                              // 00000000827C: 0B7F7F1C
	v_mul_f32_e32 v192, v28, v192                              // 000000008280: 0B81811C
	v_mul_f32_e32 v193, v28, v193                              // 000000008284: 0B83831C
	v_mul_f32_e32 v194, v28, v194                              // 000000008288: 0B85851C
	v_mul_f32_e32 v195, v28, v195                              // 00000000828C: 0B87871C
	v_mul_f32_e32 v196, v28, v196                              // 000000008290: 0B89891C
	v_mul_f32_e32 v197, v28, v197                              // 000000008294: 0B8B8B1C
	v_mul_f32_e32 v198, v28, v198                              // 000000008298: 0B8D8D1C
	v_mul_f32_e32 v199, v28, v199                              // 00000000829C: 0B8F8F1C
	v_mul_f32_e32 v200, v28, v200                              // 0000000082A0: 0B91911C
	v_mul_f32_e32 v201, v28, v201                              // 0000000082A4: 0B93931C
	v_mul_f32_e32 v202, v28, v202                              // 0000000082A8: 0B95951C
	v_mul_f32_e32 v203, v28, v203                              // 0000000082AC: 0B97971C
	v_mul_f32_e32 v204, v28, v204                              // 0000000082B0: 0B99991C
	v_mul_f32_e32 v205, v28, v205                              // 0000000082B4: 0B9B9B1C
	v_mul_f32_e32 v206, v28, v206                              // 0000000082B8: 0B9D9D1C
	v_mul_f32_e32 v207, v28, v207                              // 0000000082BC: 0B9F9F1C
	v_mul_f32_e32 v208, v28, v208                              // 0000000082C0: 0BA1A11C
	v_mul_f32_e32 v209, v28, v209                              // 0000000082C4: 0BA3A31C
	v_mul_f32_e32 v210, v28, v210                              // 0000000082C8: 0BA5A51C
	v_mul_f32_e32 v211, v28, v211                              // 0000000082CC: 0BA7A71C
	v_mul_f32_e32 v212, v28, v212                              // 0000000082D0: 0BA9A91C
	v_mul_f32_e32 v213, v28, v213                              // 0000000082D4: 0BABAB1C
	v_mul_f32_e32 v214, v28, v214                              // 0000000082D8: 0BADAD1C
	v_mul_f32_e32 v215, v28, v215                              // 0000000082DC: 0BAFAF1C
	v_mul_f32_e32 v216, v28, v216                              // 0000000082E0: 0BB1B11C
	v_mul_f32_e32 v217, v28, v217                              // 0000000082E4: 0BB3B31C
	v_mul_f32_e32 v218, v28, v218                              // 0000000082E8: 0BB5B51C
	v_mul_f32_e32 v219, v28, v219                              // 0000000082EC: 0BB7B71C
	v_mul_f32_e32 v220, v28, v220                              // 0000000082F0: 0BB9B91C
	v_mul_f32_e32 v221, v28, v221                              // 0000000082F4: 0BBBBB1C
	v_mul_f32_e32 v222, v28, v222                              // 0000000082F8: 0BBDBD1C
	v_mul_f32_e32 v223, v28, v223                              // 0000000082FC: 0BBFBF1C
	v_accvgpr_read_b32 v29, a144                               // 000000008300: D3D8401D 18000190
	v_mul_f32_e32 v29, v28, v29                                // 000000008308: 0A3A3B1C
	v_accvgpr_write_b32 a144, v29                              // 00000000830C: D3D94090 1800011D
	v_accvgpr_read_b32 v29, a145                               // 000000008314: D3D8401D 18000191
	v_mul_f32_e32 v29, v28, v29                                // 00000000831C: 0A3A3B1C
	v_accvgpr_write_b32 a145, v29                              // 000000008320: D3D94091 1800011D
	v_accvgpr_read_b32 v29, a146                               // 000000008328: D3D8401D 18000192
	v_mul_f32_e32 v29, v28, v29                                // 000000008330: 0A3A3B1C
	v_accvgpr_write_b32 a146, v29                              // 000000008334: D3D94092 1800011D
	v_accvgpr_read_b32 v29, a147                               // 00000000833C: D3D8401D 18000193
	v_mul_f32_e32 v29, v28, v29                                // 000000008344: 0A3A3B1C
	v_accvgpr_write_b32 a147, v29                              // 000000008348: D3D94093 1800011D
	v_accvgpr_read_b32 v29, a148                               // 000000008350: D3D8401D 18000194
	v_mul_f32_e32 v29, v28, v29                                // 000000008358: 0A3A3B1C
	v_accvgpr_write_b32 a148, v29                              // 00000000835C: D3D94094 1800011D
	v_accvgpr_read_b32 v29, a149                               // 000000008364: D3D8401D 18000195
	v_mul_f32_e32 v29, v28, v29                                // 00000000836C: 0A3A3B1C
	v_accvgpr_write_b32 a149, v29                              // 000000008370: D3D94095 1800011D
	v_accvgpr_read_b32 v29, a150                               // 000000008378: D3D8401D 18000196
	v_mul_f32_e32 v29, v28, v29                                // 000000008380: 0A3A3B1C
	v_accvgpr_write_b32 a150, v29                              // 000000008384: D3D94096 1800011D
	v_accvgpr_read_b32 v29, a151                               // 00000000838C: D3D8401D 18000197
	v_mul_f32_e32 v29, v28, v29                                // 000000008394: 0A3A3B1C
	v_accvgpr_write_b32 a151, v29                              // 000000008398: D3D94097 1800011D
	v_accvgpr_read_b32 v29, a152                               // 0000000083A0: D3D8401D 18000198
	v_mul_f32_e32 v29, v28, v29                                // 0000000083A8: 0A3A3B1C
	v_accvgpr_write_b32 a152, v29                              // 0000000083AC: D3D94098 1800011D
	v_accvgpr_read_b32 v29, a153                               // 0000000083B4: D3D8401D 18000199
	v_mul_f32_e32 v29, v28, v29                                // 0000000083BC: 0A3A3B1C
	v_accvgpr_write_b32 a153, v29                              // 0000000083C0: D3D94099 1800011D
	v_accvgpr_read_b32 v29, a154                               // 0000000083C8: D3D8401D 1800019A
	v_mul_f32_e32 v29, v28, v29                                // 0000000083D0: 0A3A3B1C
	v_accvgpr_write_b32 a154, v29                              // 0000000083D4: D3D9409A 1800011D
	v_accvgpr_read_b32 v29, a155                               // 0000000083DC: D3D8401D 1800019B
	v_mul_f32_e32 v29, v28, v29                                // 0000000083E4: 0A3A3B1C
	v_accvgpr_write_b32 a155, v29                              // 0000000083E8: D3D9409B 1800011D
	v_accvgpr_read_b32 v29, a156                               // 0000000083F0: D3D8401D 1800019C
	v_mul_f32_e32 v29, v28, v29                                // 0000000083F8: 0A3A3B1C
	v_accvgpr_write_b32 a156, v29                              // 0000000083FC: D3D9409C 1800011D
	v_accvgpr_read_b32 v29, a157                               // 000000008404: D3D8401D 1800019D
	v_mul_f32_e32 v29, v28, v29                                // 00000000840C: 0A3A3B1C
	v_accvgpr_write_b32 a157, v29                              // 000000008410: D3D9409D 1800011D
	v_accvgpr_read_b32 v29, a158                               // 000000008418: D3D8401D 1800019E
	v_mul_f32_e32 v29, v28, v29                                // 000000008420: 0A3A3B1C
	v_accvgpr_write_b32 a158, v29                              // 000000008424: D3D9409E 1800011D
	v_accvgpr_read_b32 v29, a159                               // 00000000842C: D3D8401D 1800019F
	v_mul_f32_e32 v29, v28, v29                                // 000000008434: 0A3A3B1C
	v_accvgpr_write_b32 a159, v29                              // 000000008438: D3D9409F 1800011D
	v_accvgpr_read_b32 v29, a160                               // 000000008440: D3D8401D 180001A0
	v_mul_f32_e32 v29, v28, v29                                // 000000008448: 0A3A3B1C
	v_accvgpr_write_b32 a160, v29                              // 00000000844C: D3D940A0 1800011D
	v_accvgpr_read_b32 v29, a161                               // 000000008454: D3D8401D 180001A1
	v_mul_f32_e32 v29, v28, v29                                // 00000000845C: 0A3A3B1C
	v_accvgpr_write_b32 a161, v29                              // 000000008460: D3D940A1 1800011D
	v_accvgpr_read_b32 v29, a162                               // 000000008468: D3D8401D 180001A2
	v_mul_f32_e32 v29, v28, v29                                // 000000008470: 0A3A3B1C
	v_accvgpr_write_b32 a162, v29                              // 000000008474: D3D940A2 1800011D
	v_accvgpr_read_b32 v29, a163                               // 00000000847C: D3D8401D 180001A3
	v_mul_f32_e32 v29, v28, v29                                // 000000008484: 0A3A3B1C
	v_accvgpr_write_b32 a163, v29                              // 000000008488: D3D940A3 1800011D
	v_accvgpr_read_b32 v29, a164                               // 000000008490: D3D8401D 180001A4
	v_mul_f32_e32 v29, v28, v29                                // 000000008498: 0A3A3B1C
	v_accvgpr_write_b32 a164, v29                              // 00000000849C: D3D940A4 1800011D
	v_accvgpr_read_b32 v29, a165                               // 0000000084A4: D3D8401D 180001A5
	v_mul_f32_e32 v29, v28, v29                                // 0000000084AC: 0A3A3B1C
	v_accvgpr_write_b32 a165, v29                              // 0000000084B0: D3D940A5 1800011D
	v_accvgpr_read_b32 v29, a166                               // 0000000084B8: D3D8401D 180001A6
	v_mul_f32_e32 v29, v28, v29                                // 0000000084C0: 0A3A3B1C
	v_accvgpr_write_b32 a166, v29                              // 0000000084C4: D3D940A6 1800011D
	v_accvgpr_read_b32 v29, a167                               // 0000000084CC: D3D8401D 180001A7
	v_mul_f32_e32 v29, v28, v29                                // 0000000084D4: 0A3A3B1C
	v_accvgpr_write_b32 a167, v29                              // 0000000084D8: D3D940A7 1800011D
	v_accvgpr_read_b32 v29, a168                               // 0000000084E0: D3D8401D 180001A8
	v_mul_f32_e32 v29, v28, v29                                // 0000000084E8: 0A3A3B1C
	v_accvgpr_write_b32 a168, v29                              // 0000000084EC: D3D940A8 1800011D
	v_accvgpr_read_b32 v29, a169                               // 0000000084F4: D3D8401D 180001A9
	v_mul_f32_e32 v29, v28, v29                                // 0000000084FC: 0A3A3B1C
	v_accvgpr_write_b32 a169, v29                              // 000000008500: D3D940A9 1800011D
	v_accvgpr_read_b32 v29, a170                               // 000000008508: D3D8401D 180001AA
	v_mul_f32_e32 v29, v28, v29                                // 000000008510: 0A3A3B1C
	v_accvgpr_write_b32 a170, v29                              // 000000008514: D3D940AA 1800011D
	v_accvgpr_read_b32 v29, a171                               // 00000000851C: D3D8401D 180001AB
	v_mul_f32_e32 v29, v28, v29                                // 000000008524: 0A3A3B1C
	v_accvgpr_write_b32 a171, v29                              // 000000008528: D3D940AB 1800011D
	v_accvgpr_read_b32 v29, a172                               // 000000008530: D3D8401D 180001AC
	v_mul_f32_e32 v29, v28, v29                                // 000000008538: 0A3A3B1C
	v_accvgpr_write_b32 a172, v29                              // 00000000853C: D3D940AC 1800011D
	v_accvgpr_read_b32 v29, a173                               // 000000008544: D3D8401D 180001AD
	v_mul_f32_e32 v29, v28, v29                                // 00000000854C: 0A3A3B1C
	v_accvgpr_write_b32 a173, v29                              // 000000008550: D3D940AD 1800011D
	v_accvgpr_read_b32 v29, a174                               // 000000008558: D3D8401D 180001AE
	v_mul_f32_e32 v29, v28, v29                                // 000000008560: 0A3A3B1C
	v_accvgpr_write_b32 a174, v29                              // 000000008564: D3D940AE 1800011D
	v_accvgpr_read_b32 v29, a175                               // 00000000856C: D3D8401D 180001AF
	v_mul_f32_e32 v29, v28, v29                                // 000000008574: 0A3A3B1C
	v_accvgpr_write_b32 a175, v29                              // 000000008578: D3D940AF 1800011D
	v_accvgpr_read_b32 v29, a176                               // 000000008580: D3D8401D 180001B0
	v_mul_f32_e32 v29, v28, v29                                // 000000008588: 0A3A3B1C
	v_accvgpr_write_b32 a176, v29                              // 00000000858C: D3D940B0 1800011D
	v_accvgpr_read_b32 v29, a177                               // 000000008594: D3D8401D 180001B1
	v_mul_f32_e32 v29, v28, v29                                // 00000000859C: 0A3A3B1C
	v_accvgpr_write_b32 a177, v29                              // 0000000085A0: D3D940B1 1800011D
	v_accvgpr_read_b32 v29, a178                               // 0000000085A8: D3D8401D 180001B2
	v_mul_f32_e32 v29, v28, v29                                // 0000000085B0: 0A3A3B1C
	v_accvgpr_write_b32 a178, v29                              // 0000000085B4: D3D940B2 1800011D
	v_accvgpr_read_b32 v29, a179                               // 0000000085BC: D3D8401D 180001B3
	v_mul_f32_e32 v29, v28, v29                                // 0000000085C4: 0A3A3B1C
	v_accvgpr_write_b32 a179, v29                              // 0000000085C8: D3D940B3 1800011D
	v_accvgpr_read_b32 v29, a180                               // 0000000085D0: D3D8401D 180001B4
	v_mul_f32_e32 v29, v28, v29                                // 0000000085D8: 0A3A3B1C
	v_accvgpr_write_b32 a180, v29                              // 0000000085DC: D3D940B4 1800011D
	v_accvgpr_read_b32 v29, a181                               // 0000000085E4: D3D8401D 180001B5
	v_mul_f32_e32 v29, v28, v29                                // 0000000085EC: 0A3A3B1C
	v_accvgpr_write_b32 a181, v29                              // 0000000085F0: D3D940B5 1800011D
	v_accvgpr_read_b32 v29, a182                               // 0000000085F8: D3D8401D 180001B6
	v_mul_f32_e32 v29, v28, v29                                // 000000008600: 0A3A3B1C
	v_accvgpr_write_b32 a182, v29                              // 000000008604: D3D940B6 1800011D
	v_accvgpr_read_b32 v29, a183                               // 00000000860C: D3D8401D 180001B7
	v_mul_f32_e32 v29, v28, v29                                // 000000008614: 0A3A3B1C
	v_accvgpr_write_b32 a183, v29                              // 000000008618: D3D940B7 1800011D
	v_accvgpr_read_b32 v29, a184                               // 000000008620: D3D8401D 180001B8
	v_mul_f32_e32 v29, v28, v29                                // 000000008628: 0A3A3B1C
	v_accvgpr_write_b32 a184, v29                              // 00000000862C: D3D940B8 1800011D
	v_accvgpr_read_b32 v29, a185                               // 000000008634: D3D8401D 180001B9
	v_mul_f32_e32 v29, v28, v29                                // 00000000863C: 0A3A3B1C
	v_accvgpr_write_b32 a185, v29                              // 000000008640: D3D940B9 1800011D
	v_accvgpr_read_b32 v29, a186                               // 000000008648: D3D8401D 180001BA
	v_mul_f32_e32 v29, v28, v29                                // 000000008650: 0A3A3B1C
	v_accvgpr_write_b32 a186, v29                              // 000000008654: D3D940BA 1800011D
	v_accvgpr_read_b32 v29, a187                               // 00000000865C: D3D8401D 180001BB
	v_mul_f32_e32 v29, v28, v29                                // 000000008664: 0A3A3B1C
	v_accvgpr_write_b32 a187, v29                              // 000000008668: D3D940BB 1800011D
	v_accvgpr_read_b32 v29, a188                               // 000000008670: D3D8401D 180001BC
	v_mul_f32_e32 v29, v28, v29                                // 000000008678: 0A3A3B1C
	v_accvgpr_write_b32 a188, v29                              // 00000000867C: D3D940BC 1800011D
	v_accvgpr_read_b32 v29, a189                               // 000000008684: D3D8401D 180001BD
	v_mul_f32_e32 v29, v28, v29                                // 00000000868C: 0A3A3B1C
	v_accvgpr_write_b32 a189, v29                              // 000000008690: D3D940BD 1800011D
	v_accvgpr_read_b32 v29, a190                               // 000000008698: D3D8401D 180001BE
	v_mul_f32_e32 v29, v28, v29                                // 0000000086A0: 0A3A3B1C
	v_accvgpr_write_b32 a190, v29                              // 0000000086A4: D3D940BE 1800011D
	v_accvgpr_read_b32 v29, a191                               // 0000000086AC: D3D8401D 180001BF
	v_mul_f32_e32 v29, v28, v29                                // 0000000086B4: 0A3A3B1C
	v_accvgpr_write_b32 a191, v29                              // 0000000086B8: D3D940BF 1800011D
	v_accvgpr_read_b32 v29, a192                               // 0000000086C0: D3D8401D 180001C0
	v_mul_f32_e32 v29, v28, v29                                // 0000000086C8: 0A3A3B1C
	v_accvgpr_write_b32 a192, v29                              // 0000000086CC: D3D940C0 1800011D
	v_accvgpr_read_b32 v29, a193                               // 0000000086D4: D3D8401D 180001C1
	v_mul_f32_e32 v29, v28, v29                                // 0000000086DC: 0A3A3B1C
	v_accvgpr_write_b32 a193, v29                              // 0000000086E0: D3D940C1 1800011D
	v_accvgpr_read_b32 v29, a194                               // 0000000086E8: D3D8401D 180001C2
	v_mul_f32_e32 v29, v28, v29                                // 0000000086F0: 0A3A3B1C
	v_accvgpr_write_b32 a194, v29                              // 0000000086F4: D3D940C2 1800011D
	v_accvgpr_read_b32 v29, a195                               // 0000000086FC: D3D8401D 180001C3
	v_mul_f32_e32 v29, v28, v29                                // 000000008704: 0A3A3B1C
	v_accvgpr_write_b32 a195, v29                              // 000000008708: D3D940C3 1800011D
	v_accvgpr_read_b32 v29, a196                               // 000000008710: D3D8401D 180001C4
	v_mul_f32_e32 v29, v28, v29                                // 000000008718: 0A3A3B1C
	v_accvgpr_write_b32 a196, v29                              // 00000000871C: D3D940C4 1800011D
	v_accvgpr_read_b32 v29, a197                               // 000000008724: D3D8401D 180001C5
	v_mul_f32_e32 v29, v28, v29                                // 00000000872C: 0A3A3B1C
	v_accvgpr_write_b32 a197, v29                              // 000000008730: D3D940C5 1800011D
	v_accvgpr_read_b32 v29, a198                               // 000000008738: D3D8401D 180001C6
	v_mul_f32_e32 v29, v28, v29                                // 000000008740: 0A3A3B1C
	v_accvgpr_write_b32 a198, v29                              // 000000008744: D3D940C6 1800011D
	v_accvgpr_read_b32 v29, a199                               // 00000000874C: D3D8401D 180001C7
	v_mul_f32_e32 v29, v28, v29                                // 000000008754: 0A3A3B1C
	v_accvgpr_write_b32 a199, v29                              // 000000008758: D3D940C7 1800011D
	v_accvgpr_read_b32 v29, a200                               // 000000008760: D3D8401D 180001C8
	v_mul_f32_e32 v29, v28, v29                                // 000000008768: 0A3A3B1C
	v_accvgpr_write_b32 a200, v29                              // 00000000876C: D3D940C8 1800011D
	v_accvgpr_read_b32 v29, a201                               // 000000008774: D3D8401D 180001C9
	v_mul_f32_e32 v29, v28, v29                                // 00000000877C: 0A3A3B1C
	v_accvgpr_write_b32 a201, v29                              // 000000008780: D3D940C9 1800011D
	v_accvgpr_read_b32 v29, a202                               // 000000008788: D3D8401D 180001CA
	v_mul_f32_e32 v29, v28, v29                                // 000000008790: 0A3A3B1C
	v_accvgpr_write_b32 a202, v29                              // 000000008794: D3D940CA 1800011D
	v_accvgpr_read_b32 v29, a203                               // 00000000879C: D3D8401D 180001CB
	v_mul_f32_e32 v29, v28, v29                                // 0000000087A4: 0A3A3B1C
	v_accvgpr_write_b32 a203, v29                              // 0000000087A8: D3D940CB 1800011D
	v_accvgpr_read_b32 v29, a204                               // 0000000087B0: D3D8401D 180001CC
	v_mul_f32_e32 v29, v28, v29                                // 0000000087B8: 0A3A3B1C
	v_accvgpr_write_b32 a204, v29                              // 0000000087BC: D3D940CC 1800011D
	v_accvgpr_read_b32 v29, a205                               // 0000000087C4: D3D8401D 180001CD
	v_mul_f32_e32 v29, v28, v29                                // 0000000087CC: 0A3A3B1C
	v_accvgpr_write_b32 a205, v29                              // 0000000087D0: D3D940CD 1800011D
	v_accvgpr_read_b32 v29, a206                               // 0000000087D8: D3D8401D 180001CE
	v_mul_f32_e32 v29, v28, v29                                // 0000000087E0: 0A3A3B1C
	v_accvgpr_write_b32 a206, v29                              // 0000000087E4: D3D940CE 1800011D
	v_accvgpr_read_b32 v29, a207                               // 0000000087EC: D3D8401D 180001CF
	v_mul_f32_e32 v29, v28, v29                                // 0000000087F4: 0A3A3B1C
	v_accvgpr_write_b32 a207, v29                              // 0000000087F8: D3D940CF 1800011D
	v_accvgpr_read_b32 v29, a208                               // 000000008800: D3D8401D 180001D0
	v_mul_f32_e32 v29, v28, v29                                // 000000008808: 0A3A3B1C
	v_accvgpr_write_b32 a208, v29                              // 00000000880C: D3D940D0 1800011D
	v_accvgpr_read_b32 v29, a209                               // 000000008814: D3D8401D 180001D1
	v_mul_f32_e32 v29, v28, v29                                // 00000000881C: 0A3A3B1C
	v_accvgpr_write_b32 a209, v29                              // 000000008820: D3D940D1 1800011D
	v_accvgpr_read_b32 v29, a210                               // 000000008828: D3D8401D 180001D2
	v_mul_f32_e32 v29, v28, v29                                // 000000008830: 0A3A3B1C
	v_accvgpr_write_b32 a210, v29                              // 000000008834: D3D940D2 1800011D
	v_accvgpr_read_b32 v29, a211                               // 00000000883C: D3D8401D 180001D3
	v_mul_f32_e32 v29, v28, v29                                // 000000008844: 0A3A3B1C
	v_accvgpr_write_b32 a211, v29                              // 000000008848: D3D940D3 1800011D
	v_accvgpr_read_b32 v29, a212                               // 000000008850: D3D8401D 180001D4
	v_mul_f32_e32 v29, v28, v29                                // 000000008858: 0A3A3B1C
	v_accvgpr_write_b32 a212, v29                              // 00000000885C: D3D940D4 1800011D
	v_accvgpr_read_b32 v29, a213                               // 000000008864: D3D8401D 180001D5
	v_mul_f32_e32 v29, v28, v29                                // 00000000886C: 0A3A3B1C
	v_accvgpr_write_b32 a213, v29                              // 000000008870: D3D940D5 1800011D
	v_accvgpr_read_b32 v29, a214                               // 000000008878: D3D8401D 180001D6
	v_mul_f32_e32 v29, v28, v29                                // 000000008880: 0A3A3B1C
	v_accvgpr_write_b32 a214, v29                              // 000000008884: D3D940D6 1800011D
	v_accvgpr_read_b32 v29, a215                               // 00000000888C: D3D8401D 180001D7
	v_mul_f32_e32 v29, v28, v29                                // 000000008894: 0A3A3B1C
	v_accvgpr_write_b32 a215, v29                              // 000000008898: D3D940D7 1800011D
	v_accvgpr_read_b32 v29, a216                               // 0000000088A0: D3D8401D 180001D8
	v_mul_f32_e32 v29, v28, v29                                // 0000000088A8: 0A3A3B1C
	v_accvgpr_write_b32 a216, v29                              // 0000000088AC: D3D940D8 1800011D
	v_accvgpr_read_b32 v29, a217                               // 0000000088B4: D3D8401D 180001D9
	v_mul_f32_e32 v29, v28, v29                                // 0000000088BC: 0A3A3B1C
	v_accvgpr_write_b32 a217, v29                              // 0000000088C0: D3D940D9 1800011D
	v_accvgpr_read_b32 v29, a218                               // 0000000088C8: D3D8401D 180001DA
	v_mul_f32_e32 v29, v28, v29                                // 0000000088D0: 0A3A3B1C
	v_accvgpr_write_b32 a218, v29                              // 0000000088D4: D3D940DA 1800011D
	v_accvgpr_read_b32 v29, a219                               // 0000000088DC: D3D8401D 180001DB
	v_mul_f32_e32 v29, v28, v29                                // 0000000088E4: 0A3A3B1C
	v_accvgpr_write_b32 a219, v29                              // 0000000088E8: D3D940DB 1800011D
	v_accvgpr_read_b32 v29, a220                               // 0000000088F0: D3D8401D 180001DC
	v_mul_f32_e32 v29, v28, v29                                // 0000000088F8: 0A3A3B1C
	v_accvgpr_write_b32 a220, v29                              // 0000000088FC: D3D940DC 1800011D
	v_accvgpr_read_b32 v29, a221                               // 000000008904: D3D8401D 180001DD
	v_mul_f32_e32 v29, v28, v29                                // 00000000890C: 0A3A3B1C
	v_accvgpr_write_b32 a221, v29                              // 000000008910: D3D940DD 1800011D
	v_accvgpr_read_b32 v29, a222                               // 000000008918: D3D8401D 180001DE
	v_mul_f32_e32 v29, v28, v29                                // 000000008920: 0A3A3B1C
	v_accvgpr_write_b32 a222, v29                              // 000000008924: D3D940DE 1800011D
	v_accvgpr_read_b32 v29, a223                               // 00000000892C: D3D8401D 180001DF
	v_mul_f32_e32 v29, v28, v29                                // 000000008934: 0A3A3B1C
	v_accvgpr_write_b32 a223, v29                              // 000000008938: D3D940DF 1800011D
	v_accvgpr_read_b32 v29, a224                               // 000000008940: D3D8401D 180001E0
	v_mul_f32_e32 v29, v28, v29                                // 000000008948: 0A3A3B1C
	v_accvgpr_write_b32 a224, v29                              // 00000000894C: D3D940E0 1800011D
	v_accvgpr_read_b32 v29, a225                               // 000000008954: D3D8401D 180001E1
	v_mul_f32_e32 v29, v28, v29                                // 00000000895C: 0A3A3B1C
	v_accvgpr_write_b32 a225, v29                              // 000000008960: D3D940E1 1800011D
	v_accvgpr_read_b32 v29, a226                               // 000000008968: D3D8401D 180001E2
	v_mul_f32_e32 v29, v28, v29                                // 000000008970: 0A3A3B1C
	v_accvgpr_write_b32 a226, v29                              // 000000008974: D3D940E2 1800011D
	v_accvgpr_read_b32 v29, a227                               // 00000000897C: D3D8401D 180001E3
	v_mul_f32_e32 v29, v28, v29                                // 000000008984: 0A3A3B1C
	v_accvgpr_write_b32 a227, v29                              // 000000008988: D3D940E3 1800011D
	v_accvgpr_read_b32 v29, a228                               // 000000008990: D3D8401D 180001E4
	v_mul_f32_e32 v29, v28, v29                                // 000000008998: 0A3A3B1C
	v_accvgpr_write_b32 a228, v29                              // 00000000899C: D3D940E4 1800011D
	v_accvgpr_read_b32 v29, a229                               // 0000000089A4: D3D8401D 180001E5
	v_mul_f32_e32 v29, v28, v29                                // 0000000089AC: 0A3A3B1C
	v_accvgpr_write_b32 a229, v29                              // 0000000089B0: D3D940E5 1800011D
	v_accvgpr_read_b32 v29, a230                               // 0000000089B8: D3D8401D 180001E6
	v_mul_f32_e32 v29, v28, v29                                // 0000000089C0: 0A3A3B1C
	v_accvgpr_write_b32 a230, v29                              // 0000000089C4: D3D940E6 1800011D
	v_accvgpr_read_b32 v29, a231                               // 0000000089CC: D3D8401D 180001E7
	v_mul_f32_e32 v29, v28, v29                                // 0000000089D4: 0A3A3B1C
	v_accvgpr_write_b32 a231, v29                              // 0000000089D8: D3D940E7 1800011D
	v_accvgpr_read_b32 v29, a232                               // 0000000089E0: D3D8401D 180001E8
	v_mul_f32_e32 v29, v28, v29                                // 0000000089E8: 0A3A3B1C
	v_accvgpr_write_b32 a232, v29                              // 0000000089EC: D3D940E8 1800011D
	v_accvgpr_read_b32 v29, a233                               // 0000000089F4: D3D8401D 180001E9
	v_mul_f32_e32 v29, v28, v29                                // 0000000089FC: 0A3A3B1C
	v_accvgpr_write_b32 a233, v29                              // 000000008A00: D3D940E9 1800011D
	v_accvgpr_read_b32 v29, a234                               // 000000008A08: D3D8401D 180001EA
	v_mul_f32_e32 v29, v28, v29                                // 000000008A10: 0A3A3B1C
	v_accvgpr_write_b32 a234, v29                              // 000000008A14: D3D940EA 1800011D
	v_accvgpr_read_b32 v29, a235                               // 000000008A1C: D3D8401D 180001EB
	v_mul_f32_e32 v29, v28, v29                                // 000000008A24: 0A3A3B1C
	v_accvgpr_write_b32 a235, v29                              // 000000008A28: D3D940EB 1800011D
	v_accvgpr_read_b32 v29, a236                               // 000000008A30: D3D8401D 180001EC
	v_mul_f32_e32 v29, v28, v29                                // 000000008A38: 0A3A3B1C
	v_accvgpr_write_b32 a236, v29                              // 000000008A3C: D3D940EC 1800011D
	v_accvgpr_read_b32 v29, a237                               // 000000008A44: D3D8401D 180001ED
	v_mul_f32_e32 v29, v28, v29                                // 000000008A4C: 0A3A3B1C
	v_accvgpr_write_b32 a237, v29                              // 000000008A50: D3D940ED 1800011D
	v_accvgpr_read_b32 v29, a238                               // 000000008A58: D3D8401D 180001EE
	v_mul_f32_e32 v29, v28, v29                                // 000000008A60: 0A3A3B1C
	v_accvgpr_write_b32 a238, v29                              // 000000008A64: D3D940EE 1800011D
	v_accvgpr_read_b32 v29, a239                               // 000000008A6C: D3D8401D 180001EF
	v_mul_f32_e32 v29, v28, v29                                // 000000008A74: 0A3A3B1C
	v_accvgpr_write_b32 a239, v29                              // 000000008A78: D3D940EF 1800011D
	s_waitcnt lgkmcnt(0)                                       // 000000008A80: BF8CC07F
	v_mfma_f32_32x32x64_f8f6f4 v[64:79], a[72:79], v[32:39], v[64:79]// 000000008A84: D3AE0040 0D024148
	ds_read_b64_tr_b8 a[72:73], v9 offset:4096                 // 000000008A8C: DBC41000 48000009
	ds_read_b64_tr_b8 a[74:75], v10 offset:4096                // 000000008A94: DBC41000 4A00000A
	ds_read_b64_tr_b8 a[76:77], v9 offset:22528                // 000000008A9C: DBC45800 4C000009
	ds_read_b64_tr_b8 a[78:79], v10 offset:22528               // 000000008AA4: DBC45800 4E00000A
	v_mfma_f32_32x32x64_f8f6f4 v[80:95], a[80:87], v[32:39], v[80:95]// 000000008AAC: D3AE0050 0D424150
	ds_read_b64_tr_b8 a[80:81], v11 offset:4096                // 000000008AB4: DBC41000 5000000B
	ds_read_b64_tr_b8 a[82:83], v12 offset:4096                // 000000008ABC: DBC41000 5200000C
	ds_read_b64_tr_b8 a[84:85], v11 offset:22528               // 000000008AC4: DBC45800 5400000B
	ds_read_b64_tr_b8 a[86:87], v12 offset:22528               // 000000008ACC: DBC45800 5600000C
	v_mfma_f32_32x32x64_f8f6f4 v[96:111], a[88:95], v[32:39], v[96:111]// 000000008AD4: D3AE0060 0D824158
	ds_read_b64_tr_b8 a[88:89], v9 offset:5120                 // 000000008ADC: DBC41400 58000009
	ds_read_b64_tr_b8 a[90:91], v10 offset:5120                // 000000008AE4: DBC41400 5A00000A
	ds_read_b64_tr_b8 a[92:93], v9 offset:23552                // 000000008AEC: DBC45C00 5C000009
	ds_read_b64_tr_b8 a[94:95], v10 offset:23552               // 000000008AF4: DBC45C00 5E00000A
	v_mfma_f32_32x32x64_f8f6f4 v[112:127], a[96:103], v[32:39], v[112:127]// 000000008AFC: D3AE0070 0DC24160
	ds_read_b64_tr_b8 a[96:97], v11 offset:5120                // 000000008B04: DBC41400 6000000B
	ds_read_b64_tr_b8 a[98:99], v12 offset:5120                // 000000008B0C: DBC41400 6200000C
	ds_read_b64_tr_b8 a[100:101], v11 offset:23552             // 000000008B14: DBC45C00 6400000B
	ds_read_b64_tr_b8 a[102:103], v12 offset:23552             // 000000008B1C: DBC45C00 6600000C
	v_mfma_f32_32x32x64_f8f6f4 v[128:143], a[104:111], v[32:39], v[128:143]// 000000008B24: D3AE0080 0E024168
	ds_read_b64_tr_b8 a[104:105], v9 offset:6144               // 000000008B2C: DBC41800 68000009
	ds_read_b64_tr_b8 a[106:107], v10 offset:6144              // 000000008B34: DBC41800 6A00000A
	ds_read_b64_tr_b8 a[108:109], v9 offset:24576              // 000000008B3C: DBC46000 6C000009
	ds_read_b64_tr_b8 a[110:111], v10 offset:24576             // 000000008B44: DBC46000 6E00000A
	v_mfma_f32_32x32x64_f8f6f4 v[144:159], a[112:119], v[32:39], v[144:159]// 000000008B4C: D3AE0090 0E424170
	ds_read_b64_tr_b8 a[112:113], v11 offset:6144              // 000000008B54: DBC41800 7000000B
	ds_read_b64_tr_b8 a[114:115], v12 offset:6144              // 000000008B5C: DBC41800 7200000C
	ds_read_b64_tr_b8 a[116:117], v11 offset:24576             // 000000008B64: DBC46000 7400000B
	ds_read_b64_tr_b8 a[118:119], v12 offset:24576             // 000000008B6C: DBC46000 7600000C
	v_mfma_f32_32x32x64_f8f6f4 v[160:175], a[120:127], v[32:39], v[160:175]// 000000008B74: D3AE00A0 0E824178
	ds_read_b64_tr_b8 a[120:121], v9 offset:7168               // 000000008B7C: DBC41C00 78000009
	ds_read_b64_tr_b8 a[122:123], v10 offset:7168              // 000000008B84: DBC41C00 7A00000A
	ds_read_b64_tr_b8 a[124:125], v9 offset:25600              // 000000008B8C: DBC46400 7C000009
	ds_read_b64_tr_b8 a[126:127], v10 offset:25600             // 000000008B94: DBC46400 7E00000A
	v_mfma_f32_32x32x64_f8f6f4 v[176:191], a[128:135], v[32:39], v[176:191]// 000000008B9C: D3AE00B0 0EC24180
	ds_read_b64_tr_b8 a[128:129], v11 offset:7168              // 000000008BA4: DBC41C00 8000000B
	ds_read_b64_tr_b8 a[130:131], v12 offset:7168              // 000000008BAC: DBC41C00 8200000C
	ds_read_b64_tr_b8 a[132:133], v11 offset:25600             // 000000008BB4: DBC46400 8400000B
	ds_read_b64_tr_b8 a[134:135], v12 offset:25600             // 000000008BBC: DBC46400 8600000C
	s_waitcnt lgkmcnt(0)                                       // 000000008BC4: BF8CC07F
	v_mfma_f32_32x32x64_f8f6f4 v[192:207], a[72:79], v[32:39], v[192:207]// 000000008BC8: D3AE00C0 0F024148
	v_mfma_f32_32x32x64_f8f6f4 v[208:223], a[80:87], v[32:39], v[208:223]// 000000008BD0: D3AE00D0 0F424150
	s_waitcnt vmcnt(10)                                        // 000000008BD8: BF8C0F7A
	s_barrier                                                  // 000000008BDC: BF8A0000
	ds_read_b128 a[72:75], v22                                 // 000000008BE0: DBFE0000 48000016
	ds_read_b128 a[76:79], v23                                 // 000000008BE8: DBFE0000 4C000017
	v_mfma_f32_32x32x64_f8f6f4 a[144:159], a[88:95], v[32:39], a[144:159]// 000000008BF0: D3AE8090 0E424158
	ds_read_b128 a[80:83], v22 offset:1024                     // 000000008BF8: DBFE0400 50000016
	ds_read_b128 a[84:87], v23 offset:1024                     // 000000008C00: DBFE0400 54000017
	v_mfma_f32_32x32x64_f8f6f4 a[160:175], a[96:103], v[32:39], a[160:175]// 000000008C08: D3AE80A0 0E824160
	ds_read_b128 a[88:91], v22 offset:2048                     // 000000008C10: DBFE0800 58000016
	ds_read_b128 a[92:95], v23 offset:2048                     // 000000008C18: DBFE0800 5C000017
	v_mfma_f32_32x32x64_f8f6f4 a[176:191], a[104:111], v[32:39], a[176:191]// 000000008C20: D3AE80B0 0EC24168
	ds_read_b128 a[96:99], v22 offset:3072                     // 000000008C28: DBFE0C00 60000016
	ds_read_b128 a[100:103], v23 offset:3072                   // 000000008C30: DBFE0C00 64000017
	v_mfma_f32_32x32x64_f8f6f4 a[192:207], a[112:119], v[32:39], a[192:207]// 000000008C38: D3AE80C0 0F024170
	ds_read_b128 a[104:107], v22 offset:4096                   // 000000008C40: DBFE1000 68000016
	ds_read_b128 a[108:111], v23 offset:4096                   // 000000008C48: DBFE1000 6C000017
	v_mfma_f32_32x32x64_f8f6f4 a[208:223], a[120:127], v[32:39], a[208:223]// 000000008C50: D3AE80D0 0F424178
	ds_read_b128 a[112:115], v22 offset:5120                   // 000000008C58: DBFE1400 70000016
	ds_read_b128 a[116:119], v23 offset:5120                   // 000000008C60: DBFE1400 74000017
	v_mfma_f32_32x32x64_f8f6f4 a[224:239], a[128:135], v[32:39], a[224:239]// 000000008C68: D3AE80E0 0F824180
	ds_read_b128 a[120:123], v22 offset:6144                   // 000000008C70: DBFE1800 78000016
	ds_read_b128 a[124:127], v23 offset:6144                   // 000000008C78: DBFE1800 7C000017
	ds_read_b128 a[128:131], v22 offset:7168                   // 000000008C80: DBFE1C00 80000016
	ds_read_b128 a[132:135], v23 offset:7168                   // 000000008C88: DBFE1C00 84000017
	ds_read_b128 a[136:139], v22 offset:8192                   // 000000008C90: DBFE2000 88000016
	ds_read_b128 a[140:143], v23 offset:8192                   // 000000008C98: DBFE2000 8C000017
	s_addk_i32 s70, 0x1                                        // 000000008CA0: B7460001
	s_cmp_lt_i32 s70, s71                                      // 000000008CA4: BF044746
	s_cbranch_scc0 label_52C0                                  // 000000008CA8: BF84FA85
	s_waitcnt lgkmcnt(4)                                       // 000000008CAC: BF8CC47F
	v_mfma_f32_32x32x64_f8f6f4 v[32:47], a[72:79], a[0:7], 0   // 000000008CB0: D3AE0020 1A020148
	v_mul_u32_u24_e64 v31, v24, s68                            // 000000008CB8: D108001F 00008918
	v_add_u32_e32 v31, v31, v1                                 // 000000008CC0: 683E031F
	buffer_load_dword v26, v27, s[24:27], 0 offen              // 000000008CC4: E0501000 80061A1B
	v_mfma_f32_32x32x64_f8f6f4 v[32:47], a[80:87], a[8:15], v[32:47]// 000000008CCC: D3AE0020 1C821150
	s_mov_b32 s56, 0x14000                                     // 000000008CD4: BEB800FF 00014000
	s_mul_i32 s57, s7, 0x2400                                  // 000000008CDC: 9239FF07 00002400
	s_add_u32 m0, s56, s57                                     // 000000008CE4: 807C3938
	buffer_load_dwordx4 v31, s[20:23], 0 offen lds             // 000000008CE8: E05D1000 8005001F
	s_add_i32 m0, m0, 0x3c0                                    // 000000008CF0: 817CFF7C 000003C0
	v_mfma_f32_32x32x64_f8f6f4 v[32:47], a[88:95], a[16:23], v[32:47]// 000000008CF8: D3AE0020 1C822158
	ds_read_b128 a[72:75], v22 offset:18432                    // 000000008D00: DBFE4800 48000016
	ds_read_b128 a[76:79], v23 offset:18432                    // 000000008D08: DBFE4800 4C000017
	v_mfma_f32_32x32x64_f8f6f4 v[32:47], a[96:103], a[24:31], v[32:47]// 000000008D10: D3AE0020 1C823160
	buffer_load_dwordx4 v31, s[20:23], 0 offen offset:64 lds   // 000000008D18: E05D1040 8005001F
	s_add_i32 m0, m0, 0x3c0                                    // 000000008D20: 817CFF7C 000003C0
	ds_read_b128 a[80:83], v22 offset:19456                    // 000000008D28: DBFE4C00 50000016
	ds_read_b128 a[84:87], v23 offset:19456                    // 000000008D30: DBFE4C00 54000017
	v_mfma_f32_32x32x64_f8f6f4 v[32:47], a[104:111], a[32:39], v[32:47]// 000000008D38: D3AE0020 1C824168
	ds_read_b128 a[88:91], v22 offset:20480                    // 000000008D40: DBFE5000 58000016
	ds_read_b128 a[92:95], v23 offset:20480                    // 000000008D48: DBFE5000 5C000017
	v_mfma_f32_32x32x64_f8f6f4 v[32:47], a[112:119], a[40:47], v[32:47]// 000000008D50: D3AE0020 1C825170
	buffer_load_dwordx4 v31, s[20:23], 0 offen offset:128 lds  // 000000008D58: E05D1080 8005001F
	s_add_i32 m0, m0, 0x3c0                                    // 000000008D60: 817CFF7C 000003C0
	ds_read_b128 a[96:99], v22 offset:21504                    // 000000008D68: DBFE5400 60000016
	ds_read_b128 a[100:103], v23 offset:21504                  // 000000008D70: DBFE5400 64000017
	v_mfma_f32_32x32x64_f8f6f4 v[32:47], a[120:127], a[48:55], v[32:47]// 000000008D78: D3AE0020 1C826178
	ds_read_b128 a[104:107], v22 offset:22528                  // 000000008D80: DBFE5800 68000016
	ds_read_b128 a[108:111], v23 offset:22528                  // 000000008D88: DBFE5800 6C000017
	v_mfma_f32_32x32x64_f8f6f4 v[32:47], a[128:135], a[56:63], v[32:47]// 000000008D90: D3AE0020 1C827180
	buffer_load_dwordx4 v31, s[20:23], 0 offen offset:192 lds  // 000000008D98: E05D10C0 8005001F
	s_add_i32 m0, m0, 0x3c0                                    // 000000008DA0: 817CFF7C 000003C0
	ds_read_b128 a[112:115], v22 offset:23552                  // 000000008DA8: DBFE5C00 70000016
	ds_read_b128 a[116:119], v23 offset:23552                  // 000000008DB0: DBFE5C00 74000017
	v_mfma_f32_32x32x64_f8f6f4 v[32:47], a[136:143], a[64:71], v[32:47]// 000000008DB8: D3AE0020 1C828188
	ds_read_b128 a[120:123], v22 offset:24576                  // 000000008DC0: DBFE6000 78000016
	ds_read_b128 a[124:127], v23 offset:24576                  // 000000008DC8: DBFE6000 7C000017
	buffer_load_dwordx4 v31, s[20:23], 0 offen offset:256 lds  // 000000008DD0: E05D1100 8005001F
	s_add_i32 m0, m0, 0x3c0                                    // 000000008DD8: 817CFF7C 000003C0
	buffer_load_dwordx4 v31, s[20:23], 0 offen offset:320 lds  // 000000008DE0: E05D1140 8005001F
	s_add_i32 m0, m0, 0x3c0                                    // 000000008DE8: 817CFF7C 000003C0
	buffer_load_dwordx4 v31, s[20:23], 0 offen offset:384 lds  // 000000008DF0: E05D1180 8005001F
	s_add_i32 m0, m0, 0x3c0                                    // 000000008DF8: 817CFF7C 000003C0
	buffer_load_dwordx4 v31, s[20:23], 0 offen offset:448 lds  // 000000008E00: E05D11C0 8005001F
	s_add_i32 m0, m0, 0x3c0                                    // 000000008E08: 817CFF7C 000003C0
	buffer_load_dwordx4 v31, s[20:23], 0 offen offset:512 lds  // 000000008E10: E05D1200 8005001F
	s_add_i32 m0, m0, 0x3c0                                    // 000000008E18: 817CFF7C 000003C0
	ds_read_b128 a[128:131], v22 offset:25600                  // 000000008E20: DBFE6400 80000016
	ds_read_b128 a[132:135], v23 offset:25600                  // 000000008E28: DBFE6400 84000017
	ds_read_b128 a[136:139], v22 offset:26624                  // 000000008E30: DBFE6800 88000016
	ds_read_b128 a[140:143], v23 offset:26624                  // 000000008E38: DBFE6800 8C000017
	v_add_u32_e32 v27, s73, v27                                // 000000008E40: 68363649
	s_waitcnt lgkmcnt(4)                                       // 000000008E44: BF8CC47F
	v_mfma_f32_32x32x64_f8f6f4 v[48:63], a[72:79], a[0:7], 0   // 000000008E48: D3AE0030 1A020148
	v_mfma_f32_32x32x64_f8f6f4 v[48:63], a[80:87], a[8:15], v[48:63]// 000000008E50: D3AE0030 1CC21150
	v_mfma_f32_32x32x64_f8f6f4 v[48:63], a[88:95], a[16:23], v[48:63]// 000000008E58: D3AE0030 1CC22158
	ds_read_b64_tr_b8 a[72:73], v13                            // 000000008E60: DBC40000 4800000D
	ds_read_b64_tr_b8 a[74:75], v14                            // 000000008E68: DBC40000 4A00000E
	ds_read_b64_tr_b8 a[76:77], v13 offset:18432               // 000000008E70: DBC44800 4C00000D
	ds_read_b64_tr_b8 a[78:79], v14 offset:18432               // 000000008E78: DBC44800 4E00000E
	v_mfma_f32_32x32x64_f8f6f4 v[48:63], a[96:103], a[24:31], v[48:63]// 000000008E80: D3AE0030 1CC23160
	ds_read_b64_tr_b8 a[80:81], v15                            // 000000008E88: DBC40000 5000000F
	ds_read_b64_tr_b8 a[82:83], v16                            // 000000008E90: DBC40000 52000010
	ds_read_b64_tr_b8 a[84:85], v15 offset:18432               // 000000008E98: DBC44800 5400000F
	ds_read_b64_tr_b8 a[86:87], v16 offset:18432               // 000000008EA0: DBC44800 56000010
	v_mfma_f32_32x32x64_f8f6f4 v[48:63], a[104:111], a[32:39], v[48:63]// 000000008EA8: D3AE0030 1CC24168
	ds_read_b64_tr_b8 a[88:89], v13 offset:1024                // 000000008EB0: DBC40400 5800000D
	ds_read_b64_tr_b8 a[90:91], v14 offset:1024                // 000000008EB8: DBC40400 5A00000E
	ds_read_b64_tr_b8 a[92:93], v13 offset:19456               // 000000008EC0: DBC44C00 5C00000D
	ds_read_b64_tr_b8 a[94:95], v14 offset:19456               // 000000008EC8: DBC44C00 5E00000E
	v_mfma_f32_32x32x64_f8f6f4 v[48:63], a[112:119], a[40:47], v[48:63]// 000000008ED0: D3AE0030 1CC25170
	ds_read_b64_tr_b8 a[96:97], v15 offset:1024                // 000000008ED8: DBC40400 6000000F
	ds_read_b64_tr_b8 a[98:99], v16 offset:1024                // 000000008EE0: DBC40400 62000010
	ds_read_b64_tr_b8 a[100:101], v15 offset:19456             // 000000008EE8: DBC44C00 6400000F
	ds_read_b64_tr_b8 a[102:103], v16 offset:19456             // 000000008EF0: DBC44C00 66000010
	v_mfma_f32_32x32x64_f8f6f4 v[48:63], a[120:127], a[48:55], v[48:63]// 000000008EF8: D3AE0030 1CC26178
	ds_read_b64_tr_b8 a[104:105], v13 offset:2048              // 000000008F00: DBC40800 6800000D
	ds_read_b64_tr_b8 a[106:107], v14 offset:2048              // 000000008F08: DBC40800 6A00000E
	ds_read_b64_tr_b8 a[108:109], v13 offset:20480             // 000000008F10: DBC45000 6C00000D
	ds_read_b64_tr_b8 a[110:111], v14 offset:20480             // 000000008F18: DBC45000 6E00000E
	v_mfma_f32_32x32x64_f8f6f4 v[48:63], a[128:135], a[56:63], v[48:63]// 000000008F20: D3AE0030 1CC27180
	ds_read_b64_tr_b8 a[112:113], v15 offset:2048              // 000000008F28: DBC40800 7000000F
	ds_read_b64_tr_b8 a[114:115], v16 offset:2048              // 000000008F30: DBC40800 72000010
	ds_read_b64_tr_b8 a[116:117], v15 offset:20480             // 000000008F38: DBC45000 7400000F
	ds_read_b64_tr_b8 a[118:119], v16 offset:20480             // 000000008F40: DBC45000 76000010
	v_mfma_f32_32x32x64_f8f6f4 v[48:63], a[136:143], a[64:71], v[48:63]// 000000008F48: D3AE0030 1CC28188
	ds_read_b64_tr_b8 a[120:121], v13 offset:3072              // 000000008F50: DBC40C00 7800000D
	ds_read_b64_tr_b8 a[122:123], v14 offset:3072              // 000000008F58: DBC40C00 7A00000E
	ds_read_b64_tr_b8 a[124:125], v13 offset:21504             // 000000008F60: DBC45400 7C00000D
	ds_read_b64_tr_b8 a[126:127], v14 offset:21504             // 000000008F68: DBC45400 7E00000E
	ds_read_b64_tr_b8 a[128:129], v15 offset:3072              // 000000008F70: DBC40C00 8000000F
	ds_read_b64_tr_b8 a[130:131], v16 offset:3072              // 000000008F78: DBC40C00 82000010
	ds_read_b64_tr_b8 a[132:133], v15 offset:21504             // 000000008F80: DBC45400 8400000F
	ds_read_b64_tr_b8 a[134:135], v16 offset:21504             // 000000008F88: DBC45400 86000010
	s_cmp_le_i32 s83, s82                                      // 000000008F90: BF055253
	s_cbranch_scc1 label_6EE8                                  // 000000008F94: BF8500D4
	v_mov_b32_e32 v28, s82                                     // 000000008F98: 7E380252
	s_cmp_eq_i32 s81, 1                                        // 000000008F9C: BF008151
	s_cbranch_scc1 label_6BC4                                  // 000000008FA0: BF850008
	s_cmp_eq_i32 s81, 2                                        // 000000008FA4: BF008251
	s_cbranch_scc1 label_6BB8                                  // 000000008FA8: BF850003
	v_add_i32 v28, s7, v28                                     // 000000008FAC: D29C001C 00023807
	s_branch label_6BC4                                        // 000000008FB4: BF820003

0000000000008fb8 <label_6BB8>:
	s_lshr_b32 s56, s7, 1                                      // 000000008FB8: 8F388107
	v_add_u32_e32 v28, s56, v28                                // 000000008FBC: 68383838
	s_branch label_6BC4                                        // 000000008FC0: BF820000

0000000000008fc4 <label_6BC4>:
	s_sub_u32 s56, s83, 63                                     // 000000008FC4: 80B8BF53
	v_lshrrev_b32_e32 v223, 5, v0                              // 000000008FC8: 21BE0085
	v_mul_i32_i24_e32 v223, 4, v223                            // 000000008FCC: 0DBFBE84
	v_add_u32_e32 v223, s56, v223                              // 000000008FD0: 69BFBE38
	v_add_u32_e32 v224, 1, v223                                // 000000008FD4: 69C1BE81
	v_add_u32_e32 v225, 2, v223                                // 000000008FD8: 69C3BE82
	v_add_u32_e32 v226, 3, v223                                // 000000008FDC: 69C5BE83
	v_mov_b32_e32 v31, 0xff800000                              // 000000008FE0: 7E3E02FF FF800000
	v_cmp_le_i32_e64 s[36:37], v223, v28                       // 000000008FE8: D0C30024 000239DF
	s_nop 0                                                    // 000000008FF0: BF800000
	v_cndmask_b32_e64 v32, v31, v32, s[36:37]                  // 000000008FF4: D1000020 0092411F
	v_add_u32_e32 v223, 8, v223                                // 000000008FFC: 69BFBE88
	v_cmp_le_i32_e64 s[36:37], v224, v28                       // 000000009000: D0C30024 000239E0
	s_nop 0                                                    // 000000009008: BF800000
	v_cndmask_b32_e64 v33, v31, v33, s[36:37]                  // 00000000900C: D1000021 0092431F
	v_add_u32_e32 v224, 8, v224                                // 000000009014: 69C1C088
	v_cmp_le_i32_e64 s[36:37], v225, v28                       // 000000009018: D0C30024 000239E1
	s_nop 0                                                    // 000000009020: BF800000
	v_cndmask_b32_e64 v34, v31, v34, s[36:37]                  // 000000009024: D1000022 0092451F
	v_add_u32_e32 v225, 8, v225                                // 00000000902C: 69C3C288
	v_cmp_le_i32_e64 s[36:37], v226, v28                       // 000000009030: D0C30024 000239E2
	s_nop 0                                                    // 000000009038: BF800000
	v_cndmask_b32_e64 v35, v31, v35, s[36:37]                  // 00000000903C: D1000023 0092471F
	v_add_u32_e32 v226, 8, v226                                // 000000009044: 69C5C488
	v_cmp_le_i32_e64 s[36:37], v223, v28                       // 000000009048: D0C30024 000239DF
	s_nop 0                                                    // 000000009050: BF800000
	v_cndmask_b32_e64 v36, v31, v36, s[36:37]                  // 000000009054: D1000024 0092491F
	v_add_u32_e32 v223, 8, v223                                // 00000000905C: 69BFBE88
	v_cmp_le_i32_e64 s[36:37], v224, v28                       // 000000009060: D0C30024 000239E0
	s_nop 0                                                    // 000000009068: BF800000
	v_cndmask_b32_e64 v37, v31, v37, s[36:37]                  // 00000000906C: D1000025 00924B1F
	v_add_u32_e32 v224, 8, v224                                // 000000009074: 69C1C088
	v_cmp_le_i32_e64 s[36:37], v225, v28                       // 000000009078: D0C30024 000239E1
	s_nop 0                                                    // 000000009080: BF800000
	v_cndmask_b32_e64 v38, v31, v38, s[36:37]                  // 000000009084: D1000026 00924D1F
	v_add_u32_e32 v225, 8, v225                                // 00000000908C: 69C3C288
	v_cmp_le_i32_e64 s[36:37], v226, v28                       // 000000009090: D0C30024 000239E2
	s_nop 0                                                    // 000000009098: BF800000
	v_cndmask_b32_e64 v39, v31, v39, s[36:37]                  // 00000000909C: D1000027 00924F1F
	v_add_u32_e32 v226, 8, v226                                // 0000000090A4: 69C5C488
	v_cmp_le_i32_e64 s[36:37], v223, v28                       // 0000000090A8: D0C30024 000239DF
	s_nop 0                                                    // 0000000090B0: BF800000
	v_cndmask_b32_e64 v40, v31, v40, s[36:37]                  // 0000000090B4: D1000028 0092511F
	v_add_u32_e32 v223, 8, v223                                // 0000000090BC: 69BFBE88
	v_cmp_le_i32_e64 s[36:37], v224, v28                       // 0000000090C0: D0C30024 000239E0
	s_nop 0                                                    // 0000000090C8: BF800000
	v_cndmask_b32_e64 v41, v31, v41, s[36:37]                  // 0000000090CC: D1000029 0092531F
	v_add_u32_e32 v224, 8, v224                                // 0000000090D4: 69C1C088
	v_cmp_le_i32_e64 s[36:37], v225, v28                       // 0000000090D8: D0C30024 000239E1
	s_nop 0                                                    // 0000000090E0: BF800000
	v_cndmask_b32_e64 v42, v31, v42, s[36:37]                  // 0000000090E4: D100002A 0092551F
	v_add_u32_e32 v225, 8, v225                                // 0000000090EC: 69C3C288
	v_cmp_le_i32_e64 s[36:37], v226, v28                       // 0000000090F0: D0C30024 000239E2
	s_nop 0                                                    // 0000000090F8: BF800000
	v_cndmask_b32_e64 v43, v31, v43, s[36:37]                  // 0000000090FC: D100002B 0092571F
	v_add_u32_e32 v226, 8, v226                                // 000000009104: 69C5C488
	v_cmp_le_i32_e64 s[36:37], v223, v28                       // 000000009108: D0C30024 000239DF
	s_nop 0                                                    // 000000009110: BF800000
	v_cndmask_b32_e64 v44, v31, v44, s[36:37]                  // 000000009114: D100002C 0092591F
	v_add_u32_e32 v223, 8, v223                                // 00000000911C: 69BFBE88
	v_cmp_le_i32_e64 s[36:37], v224, v28                       // 000000009120: D0C30024 000239E0
	s_nop 0                                                    // 000000009128: BF800000
	v_cndmask_b32_e64 v45, v31, v45, s[36:37]                  // 00000000912C: D100002D 00925B1F
	v_add_u32_e32 v224, 8, v224                                // 000000009134: 69C1C088
	v_cmp_le_i32_e64 s[36:37], v225, v28                       // 000000009138: D0C30024 000239E1
	s_nop 0                                                    // 000000009140: BF800000
	v_cndmask_b32_e64 v46, v31, v46, s[36:37]                  // 000000009144: D100002E 00925D1F
	v_add_u32_e32 v225, 8, v225                                // 00000000914C: 69C3C288
	v_cmp_le_i32_e64 s[36:37], v226, v28                       // 000000009150: D0C30024 000239E2
	s_nop 0                                                    // 000000009158: BF800000
	v_cndmask_b32_e64 v47, v31, v47, s[36:37]                  // 00000000915C: D100002F 00925F1F
	v_add_u32_e32 v226, 8, v226                                // 000000009164: 69C5C488
	v_cmp_le_i32_e64 s[36:37], v223, v28                       // 000000009168: D0C30024 000239DF
	s_nop 0                                                    // 000000009170: BF800000
	v_cndmask_b32_e64 v48, v31, v48, s[36:37]                  // 000000009174: D1000030 0092611F
	v_add_u32_e32 v223, 8, v223                                // 00000000917C: 69BFBE88
	v_cmp_le_i32_e64 s[36:37], v224, v28                       // 000000009180: D0C30024 000239E0
	s_nop 0                                                    // 000000009188: BF800000
	v_cndmask_b32_e64 v49, v31, v49, s[36:37]                  // 00000000918C: D1000031 0092631F
	v_add_u32_e32 v224, 8, v224                                // 000000009194: 69C1C088
	v_cmp_le_i32_e64 s[36:37], v225, v28                       // 000000009198: D0C30024 000239E1
	s_nop 0                                                    // 0000000091A0: BF800000
	v_cndmask_b32_e64 v50, v31, v50, s[36:37]                  // 0000000091A4: D1000032 0092651F
	v_add_u32_e32 v225, 8, v225                                // 0000000091AC: 69C3C288
	v_cmp_le_i32_e64 s[36:37], v226, v28                       // 0000000091B0: D0C30024 000239E2
	s_nop 0                                                    // 0000000091B8: BF800000
	v_cndmask_b32_e64 v51, v31, v51, s[36:37]                  // 0000000091BC: D1000033 0092671F
	v_add_u32_e32 v226, 8, v226                                // 0000000091C4: 69C5C488
	v_cmp_le_i32_e64 s[36:37], v223, v28                       // 0000000091C8: D0C30024 000239DF
	s_nop 0                                                    // 0000000091D0: BF800000
	v_cndmask_b32_e64 v52, v31, v52, s[36:37]                  // 0000000091D4: D1000034 0092691F
	v_add_u32_e32 v223, 8, v223                                // 0000000091DC: 69BFBE88
	v_cmp_le_i32_e64 s[36:37], v224, v28                       // 0000000091E0: D0C30024 000239E0
	s_nop 0                                                    // 0000000091E8: BF800000
	v_cndmask_b32_e64 v53, v31, v53, s[36:37]                  // 0000000091EC: D1000035 00926B1F
	v_add_u32_e32 v224, 8, v224                                // 0000000091F4: 69C1C088
	v_cmp_le_i32_e64 s[36:37], v225, v28                       // 0000000091F8: D0C30024 000239E1
	s_nop 0                                                    // 000000009200: BF800000
	v_cndmask_b32_e64 v54, v31, v54, s[36:37]                  // 000000009204: D1000036 00926D1F
	v_add_u32_e32 v225, 8, v225                                // 00000000920C: 69C3C288
	v_cmp_le_i32_e64 s[36:37], v226, v28                       // 000000009210: D0C30024 000239E2
	s_nop 0                                                    // 000000009218: BF800000
	v_cndmask_b32_e64 v55, v31, v55, s[36:37]                  // 00000000921C: D1000037 00926F1F
	v_add_u32_e32 v226, 8, v226                                // 000000009224: 69C5C488
	v_cmp_le_i32_e64 s[36:37], v223, v28                       // 000000009228: D0C30024 000239DF
	s_nop 0                                                    // 000000009230: BF800000
	v_cndmask_b32_e64 v56, v31, v56, s[36:37]                  // 000000009234: D1000038 0092711F
	v_add_u32_e32 v223, 8, v223                                // 00000000923C: 69BFBE88
	v_cmp_le_i32_e64 s[36:37], v224, v28                       // 000000009240: D0C30024 000239E0
	s_nop 0                                                    // 000000009248: BF800000
	v_cndmask_b32_e64 v57, v31, v57, s[36:37]                  // 00000000924C: D1000039 0092731F
	v_add_u32_e32 v224, 8, v224                                // 000000009254: 69C1C088
	v_cmp_le_i32_e64 s[36:37], v225, v28                       // 000000009258: D0C30024 000239E1
	s_nop 0                                                    // 000000009260: BF800000
	v_cndmask_b32_e64 v58, v31, v58, s[36:37]                  // 000000009264: D100003A 0092751F
	v_add_u32_e32 v225, 8, v225                                // 00000000926C: 69C3C288
	v_cmp_le_i32_e64 s[36:37], v226, v28                       // 000000009270: D0C30024 000239E2
	s_nop 0                                                    // 000000009278: BF800000
	v_cndmask_b32_e64 v59, v31, v59, s[36:37]                  // 00000000927C: D100003B 0092771F
	v_add_u32_e32 v226, 8, v226                                // 000000009284: 69C5C488
	v_cmp_le_i32_e64 s[36:37], v223, v28                       // 000000009288: D0C30024 000239DF
	s_nop 0                                                    // 000000009290: BF800000
	v_cndmask_b32_e64 v60, v31, v60, s[36:37]                  // 000000009294: D100003C 0092791F
	v_add_u32_e32 v223, 8, v223                                // 00000000929C: 69BFBE88
	v_cmp_le_i32_e64 s[36:37], v224, v28                       // 0000000092A0: D0C30024 000239E0
	s_nop 0                                                    // 0000000092A8: BF800000
	v_cndmask_b32_e64 v61, v31, v61, s[36:37]                  // 0000000092AC: D100003D 00927B1F
	v_add_u32_e32 v224, 8, v224                                // 0000000092B4: 69C1C088
	v_cmp_le_i32_e64 s[36:37], v225, v28                       // 0000000092B8: D0C30024 000239E1
	s_nop 0                                                    // 0000000092C0: BF800000
	v_cndmask_b32_e64 v62, v31, v62, s[36:37]                  // 0000000092C4: D100003E 00927D1F
	v_add_u32_e32 v225, 8, v225                                // 0000000092CC: 69C3C288
	v_cmp_le_i32_e64 s[36:37], v226, v28                       // 0000000092D0: D0C30024 000239E2
	s_nop 0                                                    // 0000000092D8: BF800000
	v_cndmask_b32_e64 v63, v31, v63, s[36:37]                  // 0000000092DC: D100003F 00927F1F
	v_add_u32_e32 v226, 8, v226                                // 0000000092E4: 69C5C488

00000000000092e8 <label_6EE8>:
	s_add_u32 s83, s84, s83                                    // 0000000092E8: 80535354
	s_nop 2                                                    // 0000000092EC: BF800002
	v_mov_b32_e32 v29, v32                                     // 0000000092F0: 7E3A0320
	v_max3_f32 v29, v32, v33, v29                              // 0000000092F4: D1D3001D 04764320
	v_max3_f32 v29, v34, v35, v29                              // 0000000092FC: D1D3001D 04764722
	v_max3_f32 v29, v36, v37, v29                              // 000000009304: D1D3001D 04764B24
	v_max3_f32 v29, v38, v39, v29                              // 00000000930C: D1D3001D 04764F26
	v_max3_f32 v29, v40, v41, v29                              // 000000009314: D1D3001D 04765328
	v_max3_f32 v29, v42, v43, v29                              // 00000000931C: D1D3001D 0476572A
	v_max3_f32 v29, v44, v45, v29                              // 000000009324: D1D3001D 04765B2C
	v_max3_f32 v29, v46, v47, v29                              // 00000000932C: D1D3001D 04765F2E
	v_max3_f32 v29, v48, v49, v29                              // 000000009334: D1D3001D 04766330
	v_max3_f32 v29, v50, v51, v29                              // 00000000933C: D1D3001D 04766732
	v_max3_f32 v29, v52, v53, v29                              // 000000009344: D1D3001D 04766B34
	v_max3_f32 v29, v54, v55, v29                              // 00000000934C: D1D3001D 04766F36
	v_max3_f32 v29, v56, v57, v29                              // 000000009354: D1D3001D 04767338
	v_max3_f32 v29, v58, v59, v29                              // 00000000935C: D1D3001D 0476773A
	v_max3_f32 v29, v60, v61, v29                              // 000000009364: D1D3001D 04767B3C
	v_max3_f32 v29, v62, v63, v29                              // 00000000936C: D1D3001D 04767F3E
	v_mov_b32_e32 v28, v29                                     // 000000009374: 7E38031D
	v_mov_b32_e32 v29, v29                                     // 000000009378: 7E3A031D
	s_nop 1                                                    // 00000000937C: BF800001
	v_permlane32_swap_b32_e32 v28, v29                         // 000000009380: 7E38B51D
	v_max3_f32 v29, v28, v29, v29                              // 000000009384: D1D3001D 04763B1C
	v_mov_b32_e32 v28, 0xff800000                              // 00000000938C: 7E3802FF FF800000
	v_cmp_eq_u32_e64 s[36:37], v28, v2                         // 000000009394: D0CA0024 0002051C
	v_max_f32_e32 v29, v29, v2                                 // 00000000939C: 163A051D
	v_sub_f32_e32 v17, v2, v29                                 // 0000000093A0: 04223B02
	v_cndmask_b32_e64 v17, v17, 0, s[36:37]                    // 0000000093A4: D1000011 00910111
	v_mov_b32_e32 v2, v29                                      // 0000000093AC: 7E04031D
	v_mul_f32_e32 v29, s5, v29                                 // 0000000093B0: 0A3A3A05
	v_mul_f32_e32 v17, s5, v17                                 // 0000000093B4: 0A222205
	v_exp_f32_e32 v17, v17                                     // 0000000093B8: 7E224111
	v_fma_f32 v32, v32, s5, -v29                               // 0000000093BC: D1CB0020 84740B20
	v_fma_f32 v33, v33, s5, -v29                               // 0000000093C4: D1CB0021 84740B21
	v_fma_f32 v34, v34, s5, -v29                               // 0000000093CC: D1CB0022 84740B22
	v_fma_f32 v35, v35, s5, -v29                               // 0000000093D4: D1CB0023 84740B23
	v_fma_f32 v36, v36, s5, -v29                               // 0000000093DC: D1CB0024 84740B24
	v_fma_f32 v37, v37, s5, -v29                               // 0000000093E4: D1CB0025 84740B25
	v_fma_f32 v38, v38, s5, -v29                               // 0000000093EC: D1CB0026 84740B26
	v_fma_f32 v39, v39, s5, -v29                               // 0000000093F4: D1CB0027 84740B27
	v_fma_f32 v40, v40, s5, -v29                               // 0000000093FC: D1CB0028 84740B28
	v_fma_f32 v41, v41, s5, -v29                               // 000000009404: D1CB0029 84740B29
	v_fma_f32 v42, v42, s5, -v29                               // 00000000940C: D1CB002A 84740B2A
	v_fma_f32 v43, v43, s5, -v29                               // 000000009414: D1CB002B 84740B2B
	v_fma_f32 v44, v44, s5, -v29                               // 00000000941C: D1CB002C 84740B2C
	v_fma_f32 v45, v45, s5, -v29                               // 000000009424: D1CB002D 84740B2D
	v_fma_f32 v46, v46, s5, -v29                               // 00000000942C: D1CB002E 84740B2E
	v_fma_f32 v47, v47, s5, -v29                               // 000000009434: D1CB002F 84740B2F
	v_fma_f32 v48, v48, s5, -v29                               // 00000000943C: D1CB0030 84740B30
	v_fma_f32 v49, v49, s5, -v29                               // 000000009444: D1CB0031 84740B31
	v_fma_f32 v50, v50, s5, -v29                               // 00000000944C: D1CB0032 84740B32
	v_fma_f32 v51, v51, s5, -v29                               // 000000009454: D1CB0033 84740B33
	v_fma_f32 v52, v52, s5, -v29                               // 00000000945C: D1CB0034 84740B34
	v_fma_f32 v53, v53, s5, -v29                               // 000000009464: D1CB0035 84740B35
	v_fma_f32 v54, v54, s5, -v29                               // 00000000946C: D1CB0036 84740B36
	v_fma_f32 v55, v55, s5, -v29                               // 000000009474: D1CB0037 84740B37
	v_fma_f32 v56, v56, s5, -v29                               // 00000000947C: D1CB0038 84740B38
	v_fma_f32 v57, v57, s5, -v29                               // 000000009484: D1CB0039 84740B39
	v_fma_f32 v58, v58, s5, -v29                               // 00000000948C: D1CB003A 84740B3A
	v_fma_f32 v59, v59, s5, -v29                               // 000000009494: D1CB003B 84740B3B
	v_fma_f32 v60, v60, s5, -v29                               // 00000000949C: D1CB003C 84740B3C
	v_fma_f32 v61, v61, s5, -v29                               // 0000000094A4: D1CB003D 84740B3D
	v_fma_f32 v62, v62, s5, -v29                               // 0000000094AC: D1CB003E 84740B3E
	v_fma_f32 v63, v63, s5, -v29                               // 0000000094B4: D1CB003F 84740B3F
	v_exp_f32_e32 v32, v32                                     // 0000000094BC: 7E404120
	v_exp_f32_e32 v33, v33                                     // 0000000094C0: 7E424121
	v_exp_f32_e32 v34, v34                                     // 0000000094C4: 7E444122
	v_exp_f32_e32 v35, v35                                     // 0000000094C8: 7E464123
	v_exp_f32_e32 v36, v36                                     // 0000000094CC: 7E484124
	v_exp_f32_e32 v37, v37                                     // 0000000094D0: 7E4A4125
	v_exp_f32_e32 v38, v38                                     // 0000000094D4: 7E4C4126
	v_exp_f32_e32 v39, v39                                     // 0000000094D8: 7E4E4127
	v_exp_f32_e32 v40, v40                                     // 0000000094DC: 7E504128
	v_exp_f32_e32 v41, v41                                     // 0000000094E0: 7E524129
	v_exp_f32_e32 v42, v42                                     // 0000000094E4: 7E54412A
	v_exp_f32_e32 v43, v43                                     // 0000000094E8: 7E56412B
	v_exp_f32_e32 v44, v44                                     // 0000000094EC: 7E58412C
	v_exp_f32_e32 v45, v45                                     // 0000000094F0: 7E5A412D
	v_exp_f32_e32 v46, v46                                     // 0000000094F4: 7E5C412E
	v_exp_f32_e32 v47, v47                                     // 0000000094F8: 7E5E412F
	v_exp_f32_e32 v48, v48                                     // 0000000094FC: 7E604130
	v_exp_f32_e32 v49, v49                                     // 000000009500: 7E624131
	v_exp_f32_e32 v50, v50                                     // 000000009504: 7E644132
	v_exp_f32_e32 v51, v51                                     // 000000009508: 7E664133
	v_exp_f32_e32 v52, v52                                     // 00000000950C: 7E684134
	v_exp_f32_e32 v53, v53                                     // 000000009510: 7E6A4135
	v_exp_f32_e32 v54, v54                                     // 000000009514: 7E6C4136
	v_exp_f32_e32 v55, v55                                     // 000000009518: 7E6E4137
	v_exp_f32_e32 v56, v56                                     // 00000000951C: 7E704138
	v_exp_f32_e32 v57, v57                                     // 000000009520: 7E724139
	v_exp_f32_e32 v58, v58                                     // 000000009524: 7E74413A
	v_exp_f32_e32 v59, v59                                     // 000000009528: 7E76413B
	v_exp_f32_e32 v60, v60                                     // 00000000952C: 7E78413C
	v_exp_f32_e32 v61, v61                                     // 000000009530: 7E7A413D
	v_exp_f32_e32 v62, v62                                     // 000000009534: 7E7C413E
	v_exp_f32_e32 v63, v63                                     // 000000009538: 7E7E413F
	v_mul_f32_e32 v4, v17, v4                                  // 00000000953C: 0A080911
	v_mov_b32_e32 v28, v32                                     // 000000009540: 7E380320
	v_add_f32_e32 v28, v33, v28                                // 000000009544: 02383921
	v_add_f32_e32 v28, v34, v28                                // 000000009548: 02383922
	v_add_f32_e32 v28, v35, v28                                // 00000000954C: 02383923
	v_add_f32_e32 v28, v36, v28                                // 000000009550: 02383924
	v_add_f32_e32 v28, v37, v28                                // 000000009554: 02383925
	;; [unrolled: 1-line block ×3, first 2 shown]
	v_add_f32_e32 v28, v39, v28                                // 00000000955C: 02383927
	v_add_f32_e32 v28, v40, v28                                // 000000009560: 02383928
	v_add_f32_e32 v28, v41, v28                                // 000000009564: 02383929
	v_add_f32_e32 v28, v42, v28                                // 000000009568: 0238392A
	v_add_f32_e32 v28, v43, v28                                // 00000000956C: 0238392B
	v_add_f32_e32 v28, v44, v28                                // 000000009570: 0238392C
	v_add_f32_e32 v28, v45, v28                                // 000000009574: 0238392D
	v_add_f32_e32 v28, v46, v28                                // 000000009578: 0238392E
	v_add_f32_e32 v28, v47, v28                                // 00000000957C: 0238392F
	v_add_f32_e32 v28, v48, v28                                // 000000009580: 02383930
	v_add_f32_e32 v28, v49, v28                                // 000000009584: 02383931
	;; [unrolled: 1-line block ×3, first 2 shown]
	v_add_f32_e32 v28, v51, v28                                // 00000000958C: 02383933
	v_add_f32_e32 v28, v52, v28                                // 000000009590: 02383934
	v_add_f32_e32 v28, v53, v28                                // 000000009594: 02383935
	;; [unrolled: 1-line block ×3, first 2 shown]
	v_add_f32_e32 v28, v55, v28                                // 00000000959C: 02383937
	v_add_f32_e32 v28, v56, v28                                // 0000000095A0: 02383938
	v_add_f32_e32 v28, v57, v28                                // 0000000095A4: 02383939
	v_add_f32_e32 v28, v58, v28                                // 0000000095A8: 0238393A
	v_add_f32_e32 v28, v59, v28                                // 0000000095AC: 0238393B
	v_add_f32_e32 v28, v60, v28                                // 0000000095B0: 0238393C
	v_add_f32_e32 v28, v61, v28                                // 0000000095B4: 0238393D
	v_add_f32_e32 v28, v62, v28                                // 0000000095B8: 0238393E
	v_add_f32_e32 v28, v63, v28                                // 0000000095BC: 0238393F
	v_add_f32_e32 v4, v28, v4                                  // 0000000095C0: 0208091C
	v_cvt_pk_fp8_f32 v32, v32, v33                             // 0000000095C4: D2A20020 00024320
	v_cvt_pk_fp8_f32 v32, v34, v35 op_sel:[0,0,1]              // 0000000095CC: D2A24020 00024722
	v_cvt_pk_fp8_f32 v33, v36, v37                             // 0000000095D4: D2A20021 00024B24
	v_cvt_pk_fp8_f32 v33, v38, v39 op_sel:[0,0,1]              // 0000000095DC: D2A24021 00024F26
	v_cvt_pk_fp8_f32 v34, v40, v41                             // 0000000095E4: D2A20022 00025328
	v_cvt_pk_fp8_f32 v34, v42, v43 op_sel:[0,0,1]              // 0000000095EC: D2A24022 0002572A
	v_cvt_pk_fp8_f32 v35, v44, v45                             // 0000000095F4: D2A20023 00025B2C
	v_cvt_pk_fp8_f32 v35, v46, v47 op_sel:[0,0,1]              // 0000000095FC: D2A24023 00025F2E
	v_cvt_pk_fp8_f32 v36, v48, v49                             // 000000009604: D2A20024 00026330
	v_cvt_pk_fp8_f32 v36, v50, v51 op_sel:[0,0,1]              // 00000000960C: D2A24024 00026732
	v_cvt_pk_fp8_f32 v37, v52, v53                             // 000000009614: D2A20025 00026B34
	v_cvt_pk_fp8_f32 v37, v54, v55 op_sel:[0,0,1]              // 00000000961C: D2A24025 00026F36
	v_cvt_pk_fp8_f32 v38, v56, v57                             // 000000009624: D2A20026 00027338
	v_cvt_pk_fp8_f32 v38, v58, v59 op_sel:[0,0,1]              // 00000000962C: D2A24026 0002773A
	v_cvt_pk_fp8_f32 v39, v60, v61                             // 000000009634: D2A20027 00027B3C
	v_cvt_pk_fp8_f32 v39, v62, v63 op_sel:[0,0,1]              // 00000000963C: D2A24027 00027F3E
	v_permlane32_swap_b32_e32 v32, v34                         // 000000009644: 7E40B522
	v_permlane32_swap_b32_e32 v33, v35                         // 000000009648: 7E42B523
	v_swap_b32 v33, v34                                        // 00000000964C: 7E42A322
	v_permlane32_swap_b32_e32 v36, v38                         // 000000009650: 7E48B526
	v_permlane32_swap_b32_e32 v37, v39                         // 000000009654: 7E4AB527
	v_swap_b32 v37, v38                                        // 000000009658: 7E4AA326
	v_mov_b32_e32 v28, v17                                     // 00000000965C: 7E380311
	v_mul_f32_e32 v64, v28, v64                                // 000000009660: 0A80811C
	v_mul_f32_e32 v65, v28, v65                                // 000000009664: 0A82831C
	v_mul_f32_e32 v66, v28, v66                                // 000000009668: 0A84851C
	v_mul_f32_e32 v67, v28, v67                                // 00000000966C: 0A86871C
	v_mul_f32_e32 v68, v28, v68                                // 000000009670: 0A88891C
	v_mul_f32_e32 v69, v28, v69                                // 000000009674: 0A8A8B1C
	v_mul_f32_e32 v70, v28, v70                                // 000000009678: 0A8C8D1C
	v_mul_f32_e32 v71, v28, v71                                // 00000000967C: 0A8E8F1C
	v_mul_f32_e32 v72, v28, v72                                // 000000009680: 0A90911C
	v_mul_f32_e32 v73, v28, v73                                // 000000009684: 0A92931C
	v_mul_f32_e32 v74, v28, v74                                // 000000009688: 0A94951C
	v_mul_f32_e32 v75, v28, v75                                // 00000000968C: 0A96971C
	v_mul_f32_e32 v76, v28, v76                                // 000000009690: 0A98991C
	v_mul_f32_e32 v77, v28, v77                                // 000000009694: 0A9A9B1C
	v_mul_f32_e32 v78, v28, v78                                // 000000009698: 0A9C9D1C
	v_mul_f32_e32 v79, v28, v79                                // 00000000969C: 0A9E9F1C
	v_mul_f32_e32 v80, v28, v80                                // 0000000096A0: 0AA0A11C
	v_mul_f32_e32 v81, v28, v81                                // 0000000096A4: 0AA2A31C
	v_mul_f32_e32 v82, v28, v82                                // 0000000096A8: 0AA4A51C
	v_mul_f32_e32 v83, v28, v83                                // 0000000096AC: 0AA6A71C
	v_mul_f32_e32 v84, v28, v84                                // 0000000096B0: 0AA8A91C
	v_mul_f32_e32 v85, v28, v85                                // 0000000096B4: 0AAAAB1C
	v_mul_f32_e32 v86, v28, v86                                // 0000000096B8: 0AACAD1C
	v_mul_f32_e32 v87, v28, v87                                // 0000000096BC: 0AAEAF1C
	v_mul_f32_e32 v88, v28, v88                                // 0000000096C0: 0AB0B11C
	v_mul_f32_e32 v89, v28, v89                                // 0000000096C4: 0AB2B31C
	v_mul_f32_e32 v90, v28, v90                                // 0000000096C8: 0AB4B51C
	v_mul_f32_e32 v91, v28, v91                                // 0000000096CC: 0AB6B71C
	v_mul_f32_e32 v92, v28, v92                                // 0000000096D0: 0AB8B91C
	v_mul_f32_e32 v93, v28, v93                                // 0000000096D4: 0ABABB1C
	v_mul_f32_e32 v94, v28, v94                                // 0000000096D8: 0ABCBD1C
	v_mul_f32_e32 v95, v28, v95                                // 0000000096DC: 0ABEBF1C
	v_mul_f32_e32 v96, v28, v96                                // 0000000096E0: 0AC0C11C
	v_mul_f32_e32 v97, v28, v97                                // 0000000096E4: 0AC2C31C
	v_mul_f32_e32 v98, v28, v98                                // 0000000096E8: 0AC4C51C
	v_mul_f32_e32 v99, v28, v99                                // 0000000096EC: 0AC6C71C
	v_mul_f32_e32 v100, v28, v100                              // 0000000096F0: 0AC8C91C
	v_mul_f32_e32 v101, v28, v101                              // 0000000096F4: 0ACACB1C
	v_mul_f32_e32 v102, v28, v102                              // 0000000096F8: 0ACCCD1C
	v_mul_f32_e32 v103, v28, v103                              // 0000000096FC: 0ACECF1C
	v_mul_f32_e32 v104, v28, v104                              // 000000009700: 0AD0D11C
	v_mul_f32_e32 v105, v28, v105                              // 000000009704: 0AD2D31C
	v_mul_f32_e32 v106, v28, v106                              // 000000009708: 0AD4D51C
	v_mul_f32_e32 v107, v28, v107                              // 00000000970C: 0AD6D71C
	v_mul_f32_e32 v108, v28, v108                              // 000000009710: 0AD8D91C
	v_mul_f32_e32 v109, v28, v109                              // 000000009714: 0ADADB1C
	v_mul_f32_e32 v110, v28, v110                              // 000000009718: 0ADCDD1C
	v_mul_f32_e32 v111, v28, v111                              // 00000000971C: 0ADEDF1C
	v_mul_f32_e32 v112, v28, v112                              // 000000009720: 0AE0E11C
	v_mul_f32_e32 v113, v28, v113                              // 000000009724: 0AE2E31C
	v_mul_f32_e32 v114, v28, v114                              // 000000009728: 0AE4E51C
	v_mul_f32_e32 v115, v28, v115                              // 00000000972C: 0AE6E71C
	v_mul_f32_e32 v116, v28, v116                              // 000000009730: 0AE8E91C
	v_mul_f32_e32 v117, v28, v117                              // 000000009734: 0AEAEB1C
	v_mul_f32_e32 v118, v28, v118                              // 000000009738: 0AECED1C
	v_mul_f32_e32 v119, v28, v119                              // 00000000973C: 0AEEEF1C
	v_mul_f32_e32 v120, v28, v120                              // 000000009740: 0AF0F11C
	v_mul_f32_e32 v121, v28, v121                              // 000000009744: 0AF2F31C
	v_mul_f32_e32 v122, v28, v122                              // 000000009748: 0AF4F51C
	v_mul_f32_e32 v123, v28, v123                              // 00000000974C: 0AF6F71C
	v_mul_f32_e32 v124, v28, v124                              // 000000009750: 0AF8F91C
	v_mul_f32_e32 v125, v28, v125                              // 000000009754: 0AFAFB1C
	v_mul_f32_e32 v126, v28, v126                              // 000000009758: 0AFCFD1C
	v_mul_f32_e32 v127, v28, v127                              // 00000000975C: 0AFEFF1C
	v_mul_f32_e32 v128, v28, v128                              // 000000009760: 0B01011C
	v_mul_f32_e32 v129, v28, v129                              // 000000009764: 0B03031C
	v_mul_f32_e32 v130, v28, v130                              // 000000009768: 0B05051C
	v_mul_f32_e32 v131, v28, v131                              // 00000000976C: 0B07071C
	v_mul_f32_e32 v132, v28, v132                              // 000000009770: 0B09091C
	v_mul_f32_e32 v133, v28, v133                              // 000000009774: 0B0B0B1C
	v_mul_f32_e32 v134, v28, v134                              // 000000009778: 0B0D0D1C
	v_mul_f32_e32 v135, v28, v135                              // 00000000977C: 0B0F0F1C
	v_mul_f32_e32 v136, v28, v136                              // 000000009780: 0B11111C
	v_mul_f32_e32 v137, v28, v137                              // 000000009784: 0B13131C
	v_mul_f32_e32 v138, v28, v138                              // 000000009788: 0B15151C
	v_mul_f32_e32 v139, v28, v139                              // 00000000978C: 0B17171C
	v_mul_f32_e32 v140, v28, v140                              // 000000009790: 0B19191C
	v_mul_f32_e32 v141, v28, v141                              // 000000009794: 0B1B1B1C
	v_mul_f32_e32 v142, v28, v142                              // 000000009798: 0B1D1D1C
	v_mul_f32_e32 v143, v28, v143                              // 00000000979C: 0B1F1F1C
	v_mul_f32_e32 v144, v28, v144                              // 0000000097A0: 0B21211C
	v_mul_f32_e32 v145, v28, v145                              // 0000000097A4: 0B23231C
	v_mul_f32_e32 v146, v28, v146                              // 0000000097A8: 0B25251C
	v_mul_f32_e32 v147, v28, v147                              // 0000000097AC: 0B27271C
	v_mul_f32_e32 v148, v28, v148                              // 0000000097B0: 0B29291C
	v_mul_f32_e32 v149, v28, v149                              // 0000000097B4: 0B2B2B1C
	v_mul_f32_e32 v150, v28, v150                              // 0000000097B8: 0B2D2D1C
	v_mul_f32_e32 v151, v28, v151                              // 0000000097BC: 0B2F2F1C
	v_mul_f32_e32 v152, v28, v152                              // 0000000097C0: 0B31311C
	v_mul_f32_e32 v153, v28, v153                              // 0000000097C4: 0B33331C
	v_mul_f32_e32 v154, v28, v154                              // 0000000097C8: 0B35351C
	v_mul_f32_e32 v155, v28, v155                              // 0000000097CC: 0B37371C
	v_mul_f32_e32 v156, v28, v156                              // 0000000097D0: 0B39391C
	v_mul_f32_e32 v157, v28, v157                              // 0000000097D4: 0B3B3B1C
	v_mul_f32_e32 v158, v28, v158                              // 0000000097D8: 0B3D3D1C
	v_mul_f32_e32 v159, v28, v159                              // 0000000097DC: 0B3F3F1C
	v_mul_f32_e32 v160, v28, v160                              // 0000000097E0: 0B41411C
	v_mul_f32_e32 v161, v28, v161                              // 0000000097E4: 0B43431C
	v_mul_f32_e32 v162, v28, v162                              // 0000000097E8: 0B45451C
	v_mul_f32_e32 v163, v28, v163                              // 0000000097EC: 0B47471C
	v_mul_f32_e32 v164, v28, v164                              // 0000000097F0: 0B49491C
	v_mul_f32_e32 v165, v28, v165                              // 0000000097F4: 0B4B4B1C
	v_mul_f32_e32 v166, v28, v166                              // 0000000097F8: 0B4D4D1C
	v_mul_f32_e32 v167, v28, v167                              // 0000000097FC: 0B4F4F1C
	v_mul_f32_e32 v168, v28, v168                              // 000000009800: 0B51511C
	v_mul_f32_e32 v169, v28, v169                              // 000000009804: 0B53531C
	v_mul_f32_e32 v170, v28, v170                              // 000000009808: 0B55551C
	v_mul_f32_e32 v171, v28, v171                              // 00000000980C: 0B57571C
	v_mul_f32_e32 v172, v28, v172                              // 000000009810: 0B59591C
	v_mul_f32_e32 v173, v28, v173                              // 000000009814: 0B5B5B1C
	v_mul_f32_e32 v174, v28, v174                              // 000000009818: 0B5D5D1C
	v_mul_f32_e32 v175, v28, v175                              // 00000000981C: 0B5F5F1C
	v_mul_f32_e32 v176, v28, v176                              // 000000009820: 0B61611C
	v_mul_f32_e32 v177, v28, v177                              // 000000009824: 0B63631C
	v_mul_f32_e32 v178, v28, v178                              // 000000009828: 0B65651C
	v_mul_f32_e32 v179, v28, v179                              // 00000000982C: 0B67671C
	v_mul_f32_e32 v180, v28, v180                              // 000000009830: 0B69691C
	v_mul_f32_e32 v181, v28, v181                              // 000000009834: 0B6B6B1C
	v_mul_f32_e32 v182, v28, v182                              // 000000009838: 0B6D6D1C
	v_mul_f32_e32 v183, v28, v183                              // 00000000983C: 0B6F6F1C
	v_mul_f32_e32 v184, v28, v184                              // 000000009840: 0B71711C
	v_mul_f32_e32 v185, v28, v185                              // 000000009844: 0B73731C
	v_mul_f32_e32 v186, v28, v186                              // 000000009848: 0B75751C
	v_mul_f32_e32 v187, v28, v187                              // 00000000984C: 0B77771C
	v_mul_f32_e32 v188, v28, v188                              // 000000009850: 0B79791C
	v_mul_f32_e32 v189, v28, v189                              // 000000009854: 0B7B7B1C
	v_mul_f32_e32 v190, v28, v190                              // 000000009858: 0B7D7D1C
	v_mul_f32_e32 v191, v28, v191                              // 00000000985C: 0B7F7F1C
	v_mul_f32_e32 v192, v28, v192                              // 000000009860: 0B81811C
	v_mul_f32_e32 v193, v28, v193                              // 000000009864: 0B83831C
	v_mul_f32_e32 v194, v28, v194                              // 000000009868: 0B85851C
	v_mul_f32_e32 v195, v28, v195                              // 00000000986C: 0B87871C
	v_mul_f32_e32 v196, v28, v196                              // 000000009870: 0B89891C
	v_mul_f32_e32 v197, v28, v197                              // 000000009874: 0B8B8B1C
	v_mul_f32_e32 v198, v28, v198                              // 000000009878: 0B8D8D1C
	v_mul_f32_e32 v199, v28, v199                              // 00000000987C: 0B8F8F1C
	v_mul_f32_e32 v200, v28, v200                              // 000000009880: 0B91911C
	v_mul_f32_e32 v201, v28, v201                              // 000000009884: 0B93931C
	v_mul_f32_e32 v202, v28, v202                              // 000000009888: 0B95951C
	v_mul_f32_e32 v203, v28, v203                              // 00000000988C: 0B97971C
	v_mul_f32_e32 v204, v28, v204                              // 000000009890: 0B99991C
	v_mul_f32_e32 v205, v28, v205                              // 000000009894: 0B9B9B1C
	v_mul_f32_e32 v206, v28, v206                              // 000000009898: 0B9D9D1C
	v_mul_f32_e32 v207, v28, v207                              // 00000000989C: 0B9F9F1C
	v_mul_f32_e32 v208, v28, v208                              // 0000000098A0: 0BA1A11C
	v_mul_f32_e32 v209, v28, v209                              // 0000000098A4: 0BA3A31C
	v_mul_f32_e32 v210, v28, v210                              // 0000000098A8: 0BA5A51C
	v_mul_f32_e32 v211, v28, v211                              // 0000000098AC: 0BA7A71C
	v_mul_f32_e32 v212, v28, v212                              // 0000000098B0: 0BA9A91C
	v_mul_f32_e32 v213, v28, v213                              // 0000000098B4: 0BABAB1C
	v_mul_f32_e32 v214, v28, v214                              // 0000000098B8: 0BADAD1C
	v_mul_f32_e32 v215, v28, v215                              // 0000000098BC: 0BAFAF1C
	v_mul_f32_e32 v216, v28, v216                              // 0000000098C0: 0BB1B11C
	v_mul_f32_e32 v217, v28, v217                              // 0000000098C4: 0BB3B31C
	v_mul_f32_e32 v218, v28, v218                              // 0000000098C8: 0BB5B51C
	v_mul_f32_e32 v219, v28, v219                              // 0000000098CC: 0BB7B71C
	v_mul_f32_e32 v220, v28, v220                              // 0000000098D0: 0BB9B91C
	v_mul_f32_e32 v221, v28, v221                              // 0000000098D4: 0BBBBB1C
	v_mul_f32_e32 v222, v28, v222                              // 0000000098D8: 0BBDBD1C
	v_mul_f32_e32 v223, v28, v223                              // 0000000098DC: 0BBFBF1C
	v_accvgpr_read_b32 v29, a144                               // 0000000098E0: D3D8401D 18000190
	v_mul_f32_e32 v29, v28, v29                                // 0000000098E8: 0A3A3B1C
	v_accvgpr_write_b32 a144, v29                              // 0000000098EC: D3D94090 1800011D
	v_accvgpr_read_b32 v29, a145                               // 0000000098F4: D3D8401D 18000191
	v_mul_f32_e32 v29, v28, v29                                // 0000000098FC: 0A3A3B1C
	v_accvgpr_write_b32 a145, v29                              // 000000009900: D3D94091 1800011D
	v_accvgpr_read_b32 v29, a146                               // 000000009908: D3D8401D 18000192
	v_mul_f32_e32 v29, v28, v29                                // 000000009910: 0A3A3B1C
	v_accvgpr_write_b32 a146, v29                              // 000000009914: D3D94092 1800011D
	v_accvgpr_read_b32 v29, a147                               // 00000000991C: D3D8401D 18000193
	v_mul_f32_e32 v29, v28, v29                                // 000000009924: 0A3A3B1C
	v_accvgpr_write_b32 a147, v29                              // 000000009928: D3D94093 1800011D
	v_accvgpr_read_b32 v29, a148                               // 000000009930: D3D8401D 18000194
	v_mul_f32_e32 v29, v28, v29                                // 000000009938: 0A3A3B1C
	v_accvgpr_write_b32 a148, v29                              // 00000000993C: D3D94094 1800011D
	v_accvgpr_read_b32 v29, a149                               // 000000009944: D3D8401D 18000195
	v_mul_f32_e32 v29, v28, v29                                // 00000000994C: 0A3A3B1C
	v_accvgpr_write_b32 a149, v29                              // 000000009950: D3D94095 1800011D
	v_accvgpr_read_b32 v29, a150                               // 000000009958: D3D8401D 18000196
	v_mul_f32_e32 v29, v28, v29                                // 000000009960: 0A3A3B1C
	v_accvgpr_write_b32 a150, v29                              // 000000009964: D3D94096 1800011D
	v_accvgpr_read_b32 v29, a151                               // 00000000996C: D3D8401D 18000197
	v_mul_f32_e32 v29, v28, v29                                // 000000009974: 0A3A3B1C
	v_accvgpr_write_b32 a151, v29                              // 000000009978: D3D94097 1800011D
	v_accvgpr_read_b32 v29, a152                               // 000000009980: D3D8401D 18000198
	v_mul_f32_e32 v29, v28, v29                                // 000000009988: 0A3A3B1C
	v_accvgpr_write_b32 a152, v29                              // 00000000998C: D3D94098 1800011D
	v_accvgpr_read_b32 v29, a153                               // 000000009994: D3D8401D 18000199
	v_mul_f32_e32 v29, v28, v29                                // 00000000999C: 0A3A3B1C
	v_accvgpr_write_b32 a153, v29                              // 0000000099A0: D3D94099 1800011D
	v_accvgpr_read_b32 v29, a154                               // 0000000099A8: D3D8401D 1800019A
	v_mul_f32_e32 v29, v28, v29                                // 0000000099B0: 0A3A3B1C
	v_accvgpr_write_b32 a154, v29                              // 0000000099B4: D3D9409A 1800011D
	v_accvgpr_read_b32 v29, a155                               // 0000000099BC: D3D8401D 1800019B
	v_mul_f32_e32 v29, v28, v29                                // 0000000099C4: 0A3A3B1C
	v_accvgpr_write_b32 a155, v29                              // 0000000099C8: D3D9409B 1800011D
	v_accvgpr_read_b32 v29, a156                               // 0000000099D0: D3D8401D 1800019C
	v_mul_f32_e32 v29, v28, v29                                // 0000000099D8: 0A3A3B1C
	v_accvgpr_write_b32 a156, v29                              // 0000000099DC: D3D9409C 1800011D
	v_accvgpr_read_b32 v29, a157                               // 0000000099E4: D3D8401D 1800019D
	v_mul_f32_e32 v29, v28, v29                                // 0000000099EC: 0A3A3B1C
	v_accvgpr_write_b32 a157, v29                              // 0000000099F0: D3D9409D 1800011D
	v_accvgpr_read_b32 v29, a158                               // 0000000099F8: D3D8401D 1800019E
	v_mul_f32_e32 v29, v28, v29                                // 000000009A00: 0A3A3B1C
	v_accvgpr_write_b32 a158, v29                              // 000000009A04: D3D9409E 1800011D
	v_accvgpr_read_b32 v29, a159                               // 000000009A0C: D3D8401D 1800019F
	v_mul_f32_e32 v29, v28, v29                                // 000000009A14: 0A3A3B1C
	v_accvgpr_write_b32 a159, v29                              // 000000009A18: D3D9409F 1800011D
	v_accvgpr_read_b32 v29, a160                               // 000000009A20: D3D8401D 180001A0
	v_mul_f32_e32 v29, v28, v29                                // 000000009A28: 0A3A3B1C
	v_accvgpr_write_b32 a160, v29                              // 000000009A2C: D3D940A0 1800011D
	v_accvgpr_read_b32 v29, a161                               // 000000009A34: D3D8401D 180001A1
	v_mul_f32_e32 v29, v28, v29                                // 000000009A3C: 0A3A3B1C
	v_accvgpr_write_b32 a161, v29                              // 000000009A40: D3D940A1 1800011D
	v_accvgpr_read_b32 v29, a162                               // 000000009A48: D3D8401D 180001A2
	v_mul_f32_e32 v29, v28, v29                                // 000000009A50: 0A3A3B1C
	v_accvgpr_write_b32 a162, v29                              // 000000009A54: D3D940A2 1800011D
	v_accvgpr_read_b32 v29, a163                               // 000000009A5C: D3D8401D 180001A3
	v_mul_f32_e32 v29, v28, v29                                // 000000009A64: 0A3A3B1C
	v_accvgpr_write_b32 a163, v29                              // 000000009A68: D3D940A3 1800011D
	v_accvgpr_read_b32 v29, a164                               // 000000009A70: D3D8401D 180001A4
	v_mul_f32_e32 v29, v28, v29                                // 000000009A78: 0A3A3B1C
	v_accvgpr_write_b32 a164, v29                              // 000000009A7C: D3D940A4 1800011D
	v_accvgpr_read_b32 v29, a165                               // 000000009A84: D3D8401D 180001A5
	v_mul_f32_e32 v29, v28, v29                                // 000000009A8C: 0A3A3B1C
	v_accvgpr_write_b32 a165, v29                              // 000000009A90: D3D940A5 1800011D
	v_accvgpr_read_b32 v29, a166                               // 000000009A98: D3D8401D 180001A6
	v_mul_f32_e32 v29, v28, v29                                // 000000009AA0: 0A3A3B1C
	v_accvgpr_write_b32 a166, v29                              // 000000009AA4: D3D940A6 1800011D
	v_accvgpr_read_b32 v29, a167                               // 000000009AAC: D3D8401D 180001A7
	v_mul_f32_e32 v29, v28, v29                                // 000000009AB4: 0A3A3B1C
	v_accvgpr_write_b32 a167, v29                              // 000000009AB8: D3D940A7 1800011D
	v_accvgpr_read_b32 v29, a168                               // 000000009AC0: D3D8401D 180001A8
	v_mul_f32_e32 v29, v28, v29                                // 000000009AC8: 0A3A3B1C
	v_accvgpr_write_b32 a168, v29                              // 000000009ACC: D3D940A8 1800011D
	v_accvgpr_read_b32 v29, a169                               // 000000009AD4: D3D8401D 180001A9
	v_mul_f32_e32 v29, v28, v29                                // 000000009ADC: 0A3A3B1C
	v_accvgpr_write_b32 a169, v29                              // 000000009AE0: D3D940A9 1800011D
	v_accvgpr_read_b32 v29, a170                               // 000000009AE8: D3D8401D 180001AA
	v_mul_f32_e32 v29, v28, v29                                // 000000009AF0: 0A3A3B1C
	v_accvgpr_write_b32 a170, v29                              // 000000009AF4: D3D940AA 1800011D
	v_accvgpr_read_b32 v29, a171                               // 000000009AFC: D3D8401D 180001AB
	v_mul_f32_e32 v29, v28, v29                                // 000000009B04: 0A3A3B1C
	v_accvgpr_write_b32 a171, v29                              // 000000009B08: D3D940AB 1800011D
	v_accvgpr_read_b32 v29, a172                               // 000000009B10: D3D8401D 180001AC
	v_mul_f32_e32 v29, v28, v29                                // 000000009B18: 0A3A3B1C
	v_accvgpr_write_b32 a172, v29                              // 000000009B1C: D3D940AC 1800011D
	v_accvgpr_read_b32 v29, a173                               // 000000009B24: D3D8401D 180001AD
	v_mul_f32_e32 v29, v28, v29                                // 000000009B2C: 0A3A3B1C
	v_accvgpr_write_b32 a173, v29                              // 000000009B30: D3D940AD 1800011D
	v_accvgpr_read_b32 v29, a174                               // 000000009B38: D3D8401D 180001AE
	v_mul_f32_e32 v29, v28, v29                                // 000000009B40: 0A3A3B1C
	v_accvgpr_write_b32 a174, v29                              // 000000009B44: D3D940AE 1800011D
	v_accvgpr_read_b32 v29, a175                               // 000000009B4C: D3D8401D 180001AF
	v_mul_f32_e32 v29, v28, v29                                // 000000009B54: 0A3A3B1C
	v_accvgpr_write_b32 a175, v29                              // 000000009B58: D3D940AF 1800011D
	v_accvgpr_read_b32 v29, a176                               // 000000009B60: D3D8401D 180001B0
	v_mul_f32_e32 v29, v28, v29                                // 000000009B68: 0A3A3B1C
	v_accvgpr_write_b32 a176, v29                              // 000000009B6C: D3D940B0 1800011D
	v_accvgpr_read_b32 v29, a177                               // 000000009B74: D3D8401D 180001B1
	v_mul_f32_e32 v29, v28, v29                                // 000000009B7C: 0A3A3B1C
	v_accvgpr_write_b32 a177, v29                              // 000000009B80: D3D940B1 1800011D
	v_accvgpr_read_b32 v29, a178                               // 000000009B88: D3D8401D 180001B2
	v_mul_f32_e32 v29, v28, v29                                // 000000009B90: 0A3A3B1C
	v_accvgpr_write_b32 a178, v29                              // 000000009B94: D3D940B2 1800011D
	v_accvgpr_read_b32 v29, a179                               // 000000009B9C: D3D8401D 180001B3
	v_mul_f32_e32 v29, v28, v29                                // 000000009BA4: 0A3A3B1C
	v_accvgpr_write_b32 a179, v29                              // 000000009BA8: D3D940B3 1800011D
	v_accvgpr_read_b32 v29, a180                               // 000000009BB0: D3D8401D 180001B4
	v_mul_f32_e32 v29, v28, v29                                // 000000009BB8: 0A3A3B1C
	v_accvgpr_write_b32 a180, v29                              // 000000009BBC: D3D940B4 1800011D
	v_accvgpr_read_b32 v29, a181                               // 000000009BC4: D3D8401D 180001B5
	v_mul_f32_e32 v29, v28, v29                                // 000000009BCC: 0A3A3B1C
	v_accvgpr_write_b32 a181, v29                              // 000000009BD0: D3D940B5 1800011D
	v_accvgpr_read_b32 v29, a182                               // 000000009BD8: D3D8401D 180001B6
	v_mul_f32_e32 v29, v28, v29                                // 000000009BE0: 0A3A3B1C
	v_accvgpr_write_b32 a182, v29                              // 000000009BE4: D3D940B6 1800011D
	v_accvgpr_read_b32 v29, a183                               // 000000009BEC: D3D8401D 180001B7
	v_mul_f32_e32 v29, v28, v29                                // 000000009BF4: 0A3A3B1C
	v_accvgpr_write_b32 a183, v29                              // 000000009BF8: D3D940B7 1800011D
	v_accvgpr_read_b32 v29, a184                               // 000000009C00: D3D8401D 180001B8
	v_mul_f32_e32 v29, v28, v29                                // 000000009C08: 0A3A3B1C
	v_accvgpr_write_b32 a184, v29                              // 000000009C0C: D3D940B8 1800011D
	v_accvgpr_read_b32 v29, a185                               // 000000009C14: D3D8401D 180001B9
	v_mul_f32_e32 v29, v28, v29                                // 000000009C1C: 0A3A3B1C
	v_accvgpr_write_b32 a185, v29                              // 000000009C20: D3D940B9 1800011D
	v_accvgpr_read_b32 v29, a186                               // 000000009C28: D3D8401D 180001BA
	v_mul_f32_e32 v29, v28, v29                                // 000000009C30: 0A3A3B1C
	v_accvgpr_write_b32 a186, v29                              // 000000009C34: D3D940BA 1800011D
	v_accvgpr_read_b32 v29, a187                               // 000000009C3C: D3D8401D 180001BB
	v_mul_f32_e32 v29, v28, v29                                // 000000009C44: 0A3A3B1C
	v_accvgpr_write_b32 a187, v29                              // 000000009C48: D3D940BB 1800011D
	v_accvgpr_read_b32 v29, a188                               // 000000009C50: D3D8401D 180001BC
	v_mul_f32_e32 v29, v28, v29                                // 000000009C58: 0A3A3B1C
	v_accvgpr_write_b32 a188, v29                              // 000000009C5C: D3D940BC 1800011D
	v_accvgpr_read_b32 v29, a189                               // 000000009C64: D3D8401D 180001BD
	v_mul_f32_e32 v29, v28, v29                                // 000000009C6C: 0A3A3B1C
	v_accvgpr_write_b32 a189, v29                              // 000000009C70: D3D940BD 1800011D
	v_accvgpr_read_b32 v29, a190                               // 000000009C78: D3D8401D 180001BE
	v_mul_f32_e32 v29, v28, v29                                // 000000009C80: 0A3A3B1C
	v_accvgpr_write_b32 a190, v29                              // 000000009C84: D3D940BE 1800011D
	v_accvgpr_read_b32 v29, a191                               // 000000009C8C: D3D8401D 180001BF
	v_mul_f32_e32 v29, v28, v29                                // 000000009C94: 0A3A3B1C
	v_accvgpr_write_b32 a191, v29                              // 000000009C98: D3D940BF 1800011D
	v_accvgpr_read_b32 v29, a192                               // 000000009CA0: D3D8401D 180001C0
	v_mul_f32_e32 v29, v28, v29                                // 000000009CA8: 0A3A3B1C
	v_accvgpr_write_b32 a192, v29                              // 000000009CAC: D3D940C0 1800011D
	v_accvgpr_read_b32 v29, a193                               // 000000009CB4: D3D8401D 180001C1
	v_mul_f32_e32 v29, v28, v29                                // 000000009CBC: 0A3A3B1C
	v_accvgpr_write_b32 a193, v29                              // 000000009CC0: D3D940C1 1800011D
	v_accvgpr_read_b32 v29, a194                               // 000000009CC8: D3D8401D 180001C2
	v_mul_f32_e32 v29, v28, v29                                // 000000009CD0: 0A3A3B1C
	v_accvgpr_write_b32 a194, v29                              // 000000009CD4: D3D940C2 1800011D
	v_accvgpr_read_b32 v29, a195                               // 000000009CDC: D3D8401D 180001C3
	v_mul_f32_e32 v29, v28, v29                                // 000000009CE4: 0A3A3B1C
	v_accvgpr_write_b32 a195, v29                              // 000000009CE8: D3D940C3 1800011D
	v_accvgpr_read_b32 v29, a196                               // 000000009CF0: D3D8401D 180001C4
	v_mul_f32_e32 v29, v28, v29                                // 000000009CF8: 0A3A3B1C
	v_accvgpr_write_b32 a196, v29                              // 000000009CFC: D3D940C4 1800011D
	v_accvgpr_read_b32 v29, a197                               // 000000009D04: D3D8401D 180001C5
	v_mul_f32_e32 v29, v28, v29                                // 000000009D0C: 0A3A3B1C
	v_accvgpr_write_b32 a197, v29                              // 000000009D10: D3D940C5 1800011D
	v_accvgpr_read_b32 v29, a198                               // 000000009D18: D3D8401D 180001C6
	v_mul_f32_e32 v29, v28, v29                                // 000000009D20: 0A3A3B1C
	v_accvgpr_write_b32 a198, v29                              // 000000009D24: D3D940C6 1800011D
	v_accvgpr_read_b32 v29, a199                               // 000000009D2C: D3D8401D 180001C7
	v_mul_f32_e32 v29, v28, v29                                // 000000009D34: 0A3A3B1C
	v_accvgpr_write_b32 a199, v29                              // 000000009D38: D3D940C7 1800011D
	v_accvgpr_read_b32 v29, a200                               // 000000009D40: D3D8401D 180001C8
	v_mul_f32_e32 v29, v28, v29                                // 000000009D48: 0A3A3B1C
	v_accvgpr_write_b32 a200, v29                              // 000000009D4C: D3D940C8 1800011D
	v_accvgpr_read_b32 v29, a201                               // 000000009D54: D3D8401D 180001C9
	v_mul_f32_e32 v29, v28, v29                                // 000000009D5C: 0A3A3B1C
	v_accvgpr_write_b32 a201, v29                              // 000000009D60: D3D940C9 1800011D
	v_accvgpr_read_b32 v29, a202                               // 000000009D68: D3D8401D 180001CA
	v_mul_f32_e32 v29, v28, v29                                // 000000009D70: 0A3A3B1C
	v_accvgpr_write_b32 a202, v29                              // 000000009D74: D3D940CA 1800011D
	v_accvgpr_read_b32 v29, a203                               // 000000009D7C: D3D8401D 180001CB
	v_mul_f32_e32 v29, v28, v29                                // 000000009D84: 0A3A3B1C
	v_accvgpr_write_b32 a203, v29                              // 000000009D88: D3D940CB 1800011D
	v_accvgpr_read_b32 v29, a204                               // 000000009D90: D3D8401D 180001CC
	v_mul_f32_e32 v29, v28, v29                                // 000000009D98: 0A3A3B1C
	v_accvgpr_write_b32 a204, v29                              // 000000009D9C: D3D940CC 1800011D
	v_accvgpr_read_b32 v29, a205                               // 000000009DA4: D3D8401D 180001CD
	v_mul_f32_e32 v29, v28, v29                                // 000000009DAC: 0A3A3B1C
	v_accvgpr_write_b32 a205, v29                              // 000000009DB0: D3D940CD 1800011D
	v_accvgpr_read_b32 v29, a206                               // 000000009DB8: D3D8401D 180001CE
	v_mul_f32_e32 v29, v28, v29                                // 000000009DC0: 0A3A3B1C
	v_accvgpr_write_b32 a206, v29                              // 000000009DC4: D3D940CE 1800011D
	v_accvgpr_read_b32 v29, a207                               // 000000009DCC: D3D8401D 180001CF
	v_mul_f32_e32 v29, v28, v29                                // 000000009DD4: 0A3A3B1C
	v_accvgpr_write_b32 a207, v29                              // 000000009DD8: D3D940CF 1800011D
	v_accvgpr_read_b32 v29, a208                               // 000000009DE0: D3D8401D 180001D0
	v_mul_f32_e32 v29, v28, v29                                // 000000009DE8: 0A3A3B1C
	v_accvgpr_write_b32 a208, v29                              // 000000009DEC: D3D940D0 1800011D
	v_accvgpr_read_b32 v29, a209                               // 000000009DF4: D3D8401D 180001D1
	v_mul_f32_e32 v29, v28, v29                                // 000000009DFC: 0A3A3B1C
	v_accvgpr_write_b32 a209, v29                              // 000000009E00: D3D940D1 1800011D
	v_accvgpr_read_b32 v29, a210                               // 000000009E08: D3D8401D 180001D2
	v_mul_f32_e32 v29, v28, v29                                // 000000009E10: 0A3A3B1C
	v_accvgpr_write_b32 a210, v29                              // 000000009E14: D3D940D2 1800011D
	v_accvgpr_read_b32 v29, a211                               // 000000009E1C: D3D8401D 180001D3
	v_mul_f32_e32 v29, v28, v29                                // 000000009E24: 0A3A3B1C
	v_accvgpr_write_b32 a211, v29                              // 000000009E28: D3D940D3 1800011D
	v_accvgpr_read_b32 v29, a212                               // 000000009E30: D3D8401D 180001D4
	v_mul_f32_e32 v29, v28, v29                                // 000000009E38: 0A3A3B1C
	v_accvgpr_write_b32 a212, v29                              // 000000009E3C: D3D940D4 1800011D
	v_accvgpr_read_b32 v29, a213                               // 000000009E44: D3D8401D 180001D5
	v_mul_f32_e32 v29, v28, v29                                // 000000009E4C: 0A3A3B1C
	v_accvgpr_write_b32 a213, v29                              // 000000009E50: D3D940D5 1800011D
	v_accvgpr_read_b32 v29, a214                               // 000000009E58: D3D8401D 180001D6
	v_mul_f32_e32 v29, v28, v29                                // 000000009E60: 0A3A3B1C
	v_accvgpr_write_b32 a214, v29                              // 000000009E64: D3D940D6 1800011D
	v_accvgpr_read_b32 v29, a215                               // 000000009E6C: D3D8401D 180001D7
	v_mul_f32_e32 v29, v28, v29                                // 000000009E74: 0A3A3B1C
	v_accvgpr_write_b32 a215, v29                              // 000000009E78: D3D940D7 1800011D
	v_accvgpr_read_b32 v29, a216                               // 000000009E80: D3D8401D 180001D8
	v_mul_f32_e32 v29, v28, v29                                // 000000009E88: 0A3A3B1C
	v_accvgpr_write_b32 a216, v29                              // 000000009E8C: D3D940D8 1800011D
	v_accvgpr_read_b32 v29, a217                               // 000000009E94: D3D8401D 180001D9
	v_mul_f32_e32 v29, v28, v29                                // 000000009E9C: 0A3A3B1C
	v_accvgpr_write_b32 a217, v29                              // 000000009EA0: D3D940D9 1800011D
	v_accvgpr_read_b32 v29, a218                               // 000000009EA8: D3D8401D 180001DA
	v_mul_f32_e32 v29, v28, v29                                // 000000009EB0: 0A3A3B1C
	v_accvgpr_write_b32 a218, v29                              // 000000009EB4: D3D940DA 1800011D
	v_accvgpr_read_b32 v29, a219                               // 000000009EBC: D3D8401D 180001DB
	v_mul_f32_e32 v29, v28, v29                                // 000000009EC4: 0A3A3B1C
	v_accvgpr_write_b32 a219, v29                              // 000000009EC8: D3D940DB 1800011D
	v_accvgpr_read_b32 v29, a220                               // 000000009ED0: D3D8401D 180001DC
	v_mul_f32_e32 v29, v28, v29                                // 000000009ED8: 0A3A3B1C
	v_accvgpr_write_b32 a220, v29                              // 000000009EDC: D3D940DC 1800011D
	v_accvgpr_read_b32 v29, a221                               // 000000009EE4: D3D8401D 180001DD
	v_mul_f32_e32 v29, v28, v29                                // 000000009EEC: 0A3A3B1C
	v_accvgpr_write_b32 a221, v29                              // 000000009EF0: D3D940DD 1800011D
	v_accvgpr_read_b32 v29, a222                               // 000000009EF8: D3D8401D 180001DE
	v_mul_f32_e32 v29, v28, v29                                // 000000009F00: 0A3A3B1C
	v_accvgpr_write_b32 a222, v29                              // 000000009F04: D3D940DE 1800011D
	v_accvgpr_read_b32 v29, a223                               // 000000009F0C: D3D8401D 180001DF
	v_mul_f32_e32 v29, v28, v29                                // 000000009F14: 0A3A3B1C
	v_accvgpr_write_b32 a223, v29                              // 000000009F18: D3D940DF 1800011D
	v_accvgpr_read_b32 v29, a224                               // 000000009F20: D3D8401D 180001E0
	v_mul_f32_e32 v29, v28, v29                                // 000000009F28: 0A3A3B1C
	v_accvgpr_write_b32 a224, v29                              // 000000009F2C: D3D940E0 1800011D
	v_accvgpr_read_b32 v29, a225                               // 000000009F34: D3D8401D 180001E1
	v_mul_f32_e32 v29, v28, v29                                // 000000009F3C: 0A3A3B1C
	v_accvgpr_write_b32 a225, v29                              // 000000009F40: D3D940E1 1800011D
	v_accvgpr_read_b32 v29, a226                               // 000000009F48: D3D8401D 180001E2
	v_mul_f32_e32 v29, v28, v29                                // 000000009F50: 0A3A3B1C
	v_accvgpr_write_b32 a226, v29                              // 000000009F54: D3D940E2 1800011D
	v_accvgpr_read_b32 v29, a227                               // 000000009F5C: D3D8401D 180001E3
	v_mul_f32_e32 v29, v28, v29                                // 000000009F64: 0A3A3B1C
	v_accvgpr_write_b32 a227, v29                              // 000000009F68: D3D940E3 1800011D
	v_accvgpr_read_b32 v29, a228                               // 000000009F70: D3D8401D 180001E4
	v_mul_f32_e32 v29, v28, v29                                // 000000009F78: 0A3A3B1C
	v_accvgpr_write_b32 a228, v29                              // 000000009F7C: D3D940E4 1800011D
	v_accvgpr_read_b32 v29, a229                               // 000000009F84: D3D8401D 180001E5
	v_mul_f32_e32 v29, v28, v29                                // 000000009F8C: 0A3A3B1C
	v_accvgpr_write_b32 a229, v29                              // 000000009F90: D3D940E5 1800011D
	v_accvgpr_read_b32 v29, a230                               // 000000009F98: D3D8401D 180001E6
	v_mul_f32_e32 v29, v28, v29                                // 000000009FA0: 0A3A3B1C
	v_accvgpr_write_b32 a230, v29                              // 000000009FA4: D3D940E6 1800011D
	v_accvgpr_read_b32 v29, a231                               // 000000009FAC: D3D8401D 180001E7
	v_mul_f32_e32 v29, v28, v29                                // 000000009FB4: 0A3A3B1C
	v_accvgpr_write_b32 a231, v29                              // 000000009FB8: D3D940E7 1800011D
	v_accvgpr_read_b32 v29, a232                               // 000000009FC0: D3D8401D 180001E8
	v_mul_f32_e32 v29, v28, v29                                // 000000009FC8: 0A3A3B1C
	v_accvgpr_write_b32 a232, v29                              // 000000009FCC: D3D940E8 1800011D
	v_accvgpr_read_b32 v29, a233                               // 000000009FD4: D3D8401D 180001E9
	v_mul_f32_e32 v29, v28, v29                                // 000000009FDC: 0A3A3B1C
	v_accvgpr_write_b32 a233, v29                              // 000000009FE0: D3D940E9 1800011D
	v_accvgpr_read_b32 v29, a234                               // 000000009FE8: D3D8401D 180001EA
	v_mul_f32_e32 v29, v28, v29                                // 000000009FF0: 0A3A3B1C
	v_accvgpr_write_b32 a234, v29                              // 000000009FF4: D3D940EA 1800011D
	v_accvgpr_read_b32 v29, a235                               // 000000009FFC: D3D8401D 180001EB
	v_mul_f32_e32 v29, v28, v29                                // 00000000A004: 0A3A3B1C
	v_accvgpr_write_b32 a235, v29                              // 00000000A008: D3D940EB 1800011D
	v_accvgpr_read_b32 v29, a236                               // 00000000A010: D3D8401D 180001EC
	v_mul_f32_e32 v29, v28, v29                                // 00000000A018: 0A3A3B1C
	v_accvgpr_write_b32 a236, v29                              // 00000000A01C: D3D940EC 1800011D
	v_accvgpr_read_b32 v29, a237                               // 00000000A024: D3D8401D 180001ED
	v_mul_f32_e32 v29, v28, v29                                // 00000000A02C: 0A3A3B1C
	v_accvgpr_write_b32 a237, v29                              // 00000000A030: D3D940ED 1800011D
	v_accvgpr_read_b32 v29, a238                               // 00000000A038: D3D8401D 180001EE
	v_mul_f32_e32 v29, v28, v29                                // 00000000A040: 0A3A3B1C
	v_accvgpr_write_b32 a238, v29                              // 00000000A044: D3D940EE 1800011D
	v_accvgpr_read_b32 v29, a239                               // 00000000A04C: D3D8401D 180001EF
	v_mul_f32_e32 v29, v28, v29                                // 00000000A054: 0A3A3B1C
	v_accvgpr_write_b32 a239, v29                              // 00000000A058: D3D940EF 1800011D
	s_waitcnt lgkmcnt(0)                                       // 00000000A060: BF8CC07F
	v_mfma_f32_32x32x64_f8f6f4 v[64:79], a[72:79], v[32:39], v[64:79]// 00000000A064: D3AE0040 0D024148
	ds_read_b64_tr_b8 a[72:73], v13 offset:4096                // 00000000A06C: DBC41000 4800000D
	ds_read_b64_tr_b8 a[74:75], v14 offset:4096                // 00000000A074: DBC41000 4A00000E
	ds_read_b64_tr_b8 a[76:77], v13 offset:22528               // 00000000A07C: DBC45800 4C00000D
	ds_read_b64_tr_b8 a[78:79], v14 offset:22528               // 00000000A084: DBC45800 4E00000E
	v_mfma_f32_32x32x64_f8f6f4 v[80:95], a[80:87], v[32:39], v[80:95]// 00000000A08C: D3AE0050 0D424150
	ds_read_b64_tr_b8 a[80:81], v15 offset:4096                // 00000000A094: DBC41000 5000000F
	ds_read_b64_tr_b8 a[82:83], v16 offset:4096                // 00000000A09C: DBC41000 52000010
	ds_read_b64_tr_b8 a[84:85], v15 offset:22528               // 00000000A0A4: DBC45800 5400000F
	ds_read_b64_tr_b8 a[86:87], v16 offset:22528               // 00000000A0AC: DBC45800 56000010
	v_mfma_f32_32x32x64_f8f6f4 v[96:111], a[88:95], v[32:39], v[96:111]// 00000000A0B4: D3AE0060 0D824158
	ds_read_b64_tr_b8 a[88:89], v13 offset:5120                // 00000000A0BC: DBC41400 5800000D
	ds_read_b64_tr_b8 a[90:91], v14 offset:5120                // 00000000A0C4: DBC41400 5A00000E
	ds_read_b64_tr_b8 a[92:93], v13 offset:23552               // 00000000A0CC: DBC45C00 5C00000D
	ds_read_b64_tr_b8 a[94:95], v14 offset:23552               // 00000000A0D4: DBC45C00 5E00000E
	v_mfma_f32_32x32x64_f8f6f4 v[112:127], a[96:103], v[32:39], v[112:127]// 00000000A0DC: D3AE0070 0DC24160
	ds_read_b64_tr_b8 a[96:97], v15 offset:5120                // 00000000A0E4: DBC41400 6000000F
	ds_read_b64_tr_b8 a[98:99], v16 offset:5120                // 00000000A0EC: DBC41400 62000010
	ds_read_b64_tr_b8 a[100:101], v15 offset:23552             // 00000000A0F4: DBC45C00 6400000F
	ds_read_b64_tr_b8 a[102:103], v16 offset:23552             // 00000000A0FC: DBC45C00 66000010
	v_mfma_f32_32x32x64_f8f6f4 v[128:143], a[104:111], v[32:39], v[128:143]// 00000000A104: D3AE0080 0E024168
	ds_read_b64_tr_b8 a[104:105], v13 offset:6144              // 00000000A10C: DBC41800 6800000D
	ds_read_b64_tr_b8 a[106:107], v14 offset:6144              // 00000000A114: DBC41800 6A00000E
	ds_read_b64_tr_b8 a[108:109], v13 offset:24576             // 00000000A11C: DBC46000 6C00000D
	ds_read_b64_tr_b8 a[110:111], v14 offset:24576             // 00000000A124: DBC46000 6E00000E
	v_mfma_f32_32x32x64_f8f6f4 v[144:159], a[112:119], v[32:39], v[144:159]// 00000000A12C: D3AE0090 0E424170
	ds_read_b64_tr_b8 a[112:113], v15 offset:6144              // 00000000A134: DBC41800 7000000F
	ds_read_b64_tr_b8 a[114:115], v16 offset:6144              // 00000000A13C: DBC41800 72000010
	ds_read_b64_tr_b8 a[116:117], v15 offset:24576             // 00000000A144: DBC46000 7400000F
	ds_read_b64_tr_b8 a[118:119], v16 offset:24576             // 00000000A14C: DBC46000 76000010
	v_mfma_f32_32x32x64_f8f6f4 v[160:175], a[120:127], v[32:39], v[160:175]// 00000000A154: D3AE00A0 0E824178
	ds_read_b64_tr_b8 a[120:121], v13 offset:7168              // 00000000A15C: DBC41C00 7800000D
	ds_read_b64_tr_b8 a[122:123], v14 offset:7168              // 00000000A164: DBC41C00 7A00000E
	ds_read_b64_tr_b8 a[124:125], v13 offset:25600             // 00000000A16C: DBC46400 7C00000D
	ds_read_b64_tr_b8 a[126:127], v14 offset:25600             // 00000000A174: DBC46400 7E00000E
	v_mfma_f32_32x32x64_f8f6f4 v[176:191], a[128:135], v[32:39], v[176:191]// 00000000A17C: D3AE00B0 0EC24180
	ds_read_b64_tr_b8 a[128:129], v15 offset:7168              // 00000000A184: DBC41C00 8000000F
	ds_read_b64_tr_b8 a[130:131], v16 offset:7168              // 00000000A18C: DBC41C00 82000010
	ds_read_b64_tr_b8 a[132:133], v15 offset:25600             // 00000000A194: DBC46400 8400000F
	ds_read_b64_tr_b8 a[134:135], v16 offset:25600             // 00000000A19C: DBC46400 86000010
	s_waitcnt lgkmcnt(0)                                       // 00000000A1A4: BF8CC07F
	v_mfma_f32_32x32x64_f8f6f4 v[192:207], a[72:79], v[32:39], v[192:207]// 00000000A1A8: D3AE00C0 0F024148
	v_mfma_f32_32x32x64_f8f6f4 v[208:223], a[80:87], v[32:39], v[208:223]// 00000000A1B0: D3AE00D0 0F424150
	s_waitcnt vmcnt(10)                                        // 00000000A1B8: BF8C0F7A
	s_barrier                                                  // 00000000A1BC: BF8A0000
	ds_read_b128 a[72:75], v18                                 // 00000000A1C0: DBFE0000 48000012
	ds_read_b128 a[76:79], v19                                 // 00000000A1C8: DBFE0000 4C000013
	v_mfma_f32_32x32x64_f8f6f4 a[144:159], a[88:95], v[32:39], a[144:159]// 00000000A1D0: D3AE8090 0E424158
	ds_read_b128 a[80:83], v18 offset:1024                     // 00000000A1D8: DBFE0400 50000012
	ds_read_b128 a[84:87], v19 offset:1024                     // 00000000A1E0: DBFE0400 54000013
	v_mfma_f32_32x32x64_f8f6f4 a[160:175], a[96:103], v[32:39], a[160:175]// 00000000A1E8: D3AE80A0 0E824160
	ds_read_b128 a[88:91], v18 offset:2048                     // 00000000A1F0: DBFE0800 58000012
	ds_read_b128 a[92:95], v19 offset:2048                     // 00000000A1F8: DBFE0800 5C000013
	v_mfma_f32_32x32x64_f8f6f4 a[176:191], a[104:111], v[32:39], a[176:191]// 00000000A200: D3AE80B0 0EC24168
	ds_read_b128 a[96:99], v18 offset:3072                     // 00000000A208: DBFE0C00 60000012
	ds_read_b128 a[100:103], v19 offset:3072                   // 00000000A210: DBFE0C00 64000013
	v_mfma_f32_32x32x64_f8f6f4 a[192:207], a[112:119], v[32:39], a[192:207]// 00000000A218: D3AE80C0 0F024170
	ds_read_b128 a[104:107], v18 offset:4096                   // 00000000A220: DBFE1000 68000012
	ds_read_b128 a[108:111], v19 offset:4096                   // 00000000A228: DBFE1000 6C000013
	v_mfma_f32_32x32x64_f8f6f4 a[208:223], a[120:127], v[32:39], a[208:223]// 00000000A230: D3AE80D0 0F424178
	ds_read_b128 a[112:115], v18 offset:5120                   // 00000000A238: DBFE1400 70000012
	ds_read_b128 a[116:119], v19 offset:5120                   // 00000000A240: DBFE1400 74000013
	v_mfma_f32_32x32x64_f8f6f4 a[224:239], a[128:135], v[32:39], a[224:239]// 00000000A248: D3AE80E0 0F824180
	ds_read_b128 a[120:123], v18 offset:6144                   // 00000000A250: DBFE1800 78000012
	ds_read_b128 a[124:127], v19 offset:6144                   // 00000000A258: DBFE1800 7C000013
	ds_read_b128 a[128:131], v18 offset:7168                   // 00000000A260: DBFE1C00 80000012
	ds_read_b128 a[132:135], v19 offset:7168                   // 00000000A268: DBFE1C00 84000013
	ds_read_b128 a[136:139], v18 offset:8192                   // 00000000A270: DBFE2000 88000012
	ds_read_b128 a[140:143], v19 offset:8192                   // 00000000A278: DBFE2000 8C000013
	s_addk_i32 s70, 0x1                                        // 00000000A280: B7460001
	s_cmp_lt_i32 s70, s71                                      // 00000000A284: BF044746
	s_cbranch_scc0 label_52C0                                  // 00000000A288: BF84F50D
	s_waitcnt lgkmcnt(4)                                       // 00000000A28C: BF8CC47F
	v_mfma_f32_32x32x64_f8f6f4 v[32:47], a[72:79], a[0:7], 0   // 00000000A290: D3AE0020 1A020148
	v_mul_u32_u24_e64 v31, v25, s68                            // 00000000A298: D108001F 00008919
	v_add_u32_e32 v31, v31, v1                                 // 00000000A2A0: 683E031F
	buffer_load_dword v24, v27, s[24:27], 0 offen              // 00000000A2A4: E0501000 8006181B
	v_mfma_f32_32x32x64_f8f6f4 v[32:47], a[80:87], a[8:15], v[32:47]// 00000000A2AC: D3AE0020 1C821150
	s_mov_b32 s56, 0x1d000                                     // 00000000A2B4: BEB800FF 0001D000
	s_mul_i32 s57, s7, 0x2400                                  // 00000000A2BC: 9239FF07 00002400
	s_add_u32 m0, s56, s57                                     // 00000000A2C4: 807C3938
	buffer_load_dwordx4 v31, s[20:23], 0 offen lds             // 00000000A2C8: E05D1000 8005001F
	s_add_i32 m0, m0, 0x3c0                                    // 00000000A2D0: 817CFF7C 000003C0
	v_mfma_f32_32x32x64_f8f6f4 v[32:47], a[88:95], a[16:23], v[32:47]// 00000000A2D8: D3AE0020 1C822158
	ds_read_b128 a[72:75], v18 offset:18432                    // 00000000A2E0: DBFE4800 48000012
	ds_read_b128 a[76:79], v19 offset:18432                    // 00000000A2E8: DBFE4800 4C000013
	v_mfma_f32_32x32x64_f8f6f4 v[32:47], a[96:103], a[24:31], v[32:47]// 00000000A2F0: D3AE0020 1C823160
	buffer_load_dwordx4 v31, s[20:23], 0 offen offset:64 lds   // 00000000A2F8: E05D1040 8005001F
	s_add_i32 m0, m0, 0x3c0                                    // 00000000A300: 817CFF7C 000003C0
	ds_read_b128 a[80:83], v18 offset:19456                    // 00000000A308: DBFE4C00 50000012
	ds_read_b128 a[84:87], v19 offset:19456                    // 00000000A310: DBFE4C00 54000013
	v_mfma_f32_32x32x64_f8f6f4 v[32:47], a[104:111], a[32:39], v[32:47]// 00000000A318: D3AE0020 1C824168
	ds_read_b128 a[88:91], v18 offset:20480                    // 00000000A320: DBFE5000 58000012
	ds_read_b128 a[92:95], v19 offset:20480                    // 00000000A328: DBFE5000 5C000013
	v_mfma_f32_32x32x64_f8f6f4 v[32:47], a[112:119], a[40:47], v[32:47]// 00000000A330: D3AE0020 1C825170
	buffer_load_dwordx4 v31, s[20:23], 0 offen offset:128 lds  // 00000000A338: E05D1080 8005001F
	s_add_i32 m0, m0, 0x3c0                                    // 00000000A340: 817CFF7C 000003C0
	ds_read_b128 a[96:99], v18 offset:21504                    // 00000000A348: DBFE5400 60000012
	ds_read_b128 a[100:103], v19 offset:21504                  // 00000000A350: DBFE5400 64000013
	v_mfma_f32_32x32x64_f8f6f4 v[32:47], a[120:127], a[48:55], v[32:47]// 00000000A358: D3AE0020 1C826178
	ds_read_b128 a[104:107], v18 offset:22528                  // 00000000A360: DBFE5800 68000012
	ds_read_b128 a[108:111], v19 offset:22528                  // 00000000A368: DBFE5800 6C000013
	v_mfma_f32_32x32x64_f8f6f4 v[32:47], a[128:135], a[56:63], v[32:47]// 00000000A370: D3AE0020 1C827180
	buffer_load_dwordx4 v31, s[20:23], 0 offen offset:192 lds  // 00000000A378: E05D10C0 8005001F
	s_add_i32 m0, m0, 0x3c0                                    // 00000000A380: 817CFF7C 000003C0
	ds_read_b128 a[112:115], v18 offset:23552                  // 00000000A388: DBFE5C00 70000012
	ds_read_b128 a[116:119], v19 offset:23552                  // 00000000A390: DBFE5C00 74000013
	v_mfma_f32_32x32x64_f8f6f4 v[32:47], a[136:143], a[64:71], v[32:47]// 00000000A398: D3AE0020 1C828188
	ds_read_b128 a[120:123], v18 offset:24576                  // 00000000A3A0: DBFE6000 78000012
	ds_read_b128 a[124:127], v19 offset:24576                  // 00000000A3A8: DBFE6000 7C000013
	buffer_load_dwordx4 v31, s[20:23], 0 offen offset:256 lds  // 00000000A3B0: E05D1100 8005001F
	s_add_i32 m0, m0, 0x3c0                                    // 00000000A3B8: 817CFF7C 000003C0
	buffer_load_dwordx4 v31, s[20:23], 0 offen offset:320 lds  // 00000000A3C0: E05D1140 8005001F
	s_add_i32 m0, m0, 0x3c0                                    // 00000000A3C8: 817CFF7C 000003C0
	buffer_load_dwordx4 v31, s[20:23], 0 offen offset:384 lds  // 00000000A3D0: E05D1180 8005001F
	s_add_i32 m0, m0, 0x3c0                                    // 00000000A3D8: 817CFF7C 000003C0
	buffer_load_dwordx4 v31, s[20:23], 0 offen offset:448 lds  // 00000000A3E0: E05D11C0 8005001F
	s_add_i32 m0, m0, 0x3c0                                    // 00000000A3E8: 817CFF7C 000003C0
	buffer_load_dwordx4 v31, s[20:23], 0 offen offset:512 lds  // 00000000A3F0: E05D1200 8005001F
	s_add_i32 m0, m0, 0x3c0                                    // 00000000A3F8: 817CFF7C 000003C0
	ds_read_b128 a[128:131], v18 offset:25600                  // 00000000A400: DBFE6400 80000012
	ds_read_b128 a[132:135], v19 offset:25600                  // 00000000A408: DBFE6400 84000013
	ds_read_b128 a[136:139], v18 offset:26624                  // 00000000A410: DBFE6800 88000012
	ds_read_b128 a[140:143], v19 offset:26624                  // 00000000A418: DBFE6800 8C000013
	v_add_u32_e32 v27, s73, v27                                // 00000000A420: 68363649
	s_waitcnt lgkmcnt(4)                                       // 00000000A424: BF8CC47F
	v_mfma_f32_32x32x64_f8f6f4 v[48:63], a[72:79], a[0:7], 0   // 00000000A428: D3AE0030 1A020148
	v_mfma_f32_32x32x64_f8f6f4 v[48:63], a[80:87], a[8:15], v[48:63]// 00000000A430: D3AE0030 1CC21150
	v_mfma_f32_32x32x64_f8f6f4 v[48:63], a[88:95], a[16:23], v[48:63]// 00000000A438: D3AE0030 1CC22158
	ds_read_b64_tr_b8 a[72:73], v5                             // 00000000A440: DBC40000 48000005
	ds_read_b64_tr_b8 a[74:75], v6                             // 00000000A448: DBC40000 4A000006
	ds_read_b64_tr_b8 a[76:77], v5 offset:18432                // 00000000A450: DBC44800 4C000005
	ds_read_b64_tr_b8 a[78:79], v6 offset:18432                // 00000000A458: DBC44800 4E000006
	v_mfma_f32_32x32x64_f8f6f4 v[48:63], a[96:103], a[24:31], v[48:63]// 00000000A460: D3AE0030 1CC23160
	ds_read_b64_tr_b8 a[80:81], v7                             // 00000000A468: DBC40000 50000007
	ds_read_b64_tr_b8 a[82:83], v8                             // 00000000A470: DBC40000 52000008
	ds_read_b64_tr_b8 a[84:85], v7 offset:18432                // 00000000A478: DBC44800 54000007
	ds_read_b64_tr_b8 a[86:87], v8 offset:18432                // 00000000A480: DBC44800 56000008
	v_mfma_f32_32x32x64_f8f6f4 v[48:63], a[104:111], a[32:39], v[48:63]// 00000000A488: D3AE0030 1CC24168
	ds_read_b64_tr_b8 a[88:89], v5 offset:1024                 // 00000000A490: DBC40400 58000005
	ds_read_b64_tr_b8 a[90:91], v6 offset:1024                 // 00000000A498: DBC40400 5A000006
	ds_read_b64_tr_b8 a[92:93], v5 offset:19456                // 00000000A4A0: DBC44C00 5C000005
	ds_read_b64_tr_b8 a[94:95], v6 offset:19456                // 00000000A4A8: DBC44C00 5E000006
	v_mfma_f32_32x32x64_f8f6f4 v[48:63], a[112:119], a[40:47], v[48:63]// 00000000A4B0: D3AE0030 1CC25170
	ds_read_b64_tr_b8 a[96:97], v7 offset:1024                 // 00000000A4B8: DBC40400 60000007
	ds_read_b64_tr_b8 a[98:99], v8 offset:1024                 // 00000000A4C0: DBC40400 62000008
	ds_read_b64_tr_b8 a[100:101], v7 offset:19456              // 00000000A4C8: DBC44C00 64000007
	ds_read_b64_tr_b8 a[102:103], v8 offset:19456              // 00000000A4D0: DBC44C00 66000008
	v_mfma_f32_32x32x64_f8f6f4 v[48:63], a[120:127], a[48:55], v[48:63]// 00000000A4D8: D3AE0030 1CC26178
	ds_read_b64_tr_b8 a[104:105], v5 offset:2048               // 00000000A4E0: DBC40800 68000005
	ds_read_b64_tr_b8 a[106:107], v6 offset:2048               // 00000000A4E8: DBC40800 6A000006
	ds_read_b64_tr_b8 a[108:109], v5 offset:20480              // 00000000A4F0: DBC45000 6C000005
	ds_read_b64_tr_b8 a[110:111], v6 offset:20480              // 00000000A4F8: DBC45000 6E000006
	v_mfma_f32_32x32x64_f8f6f4 v[48:63], a[128:135], a[56:63], v[48:63]// 00000000A500: D3AE0030 1CC27180
	ds_read_b64_tr_b8 a[112:113], v7 offset:2048               // 00000000A508: DBC40800 70000007
	ds_read_b64_tr_b8 a[114:115], v8 offset:2048               // 00000000A510: DBC40800 72000008
	ds_read_b64_tr_b8 a[116:117], v7 offset:20480              // 00000000A518: DBC45000 74000007
	ds_read_b64_tr_b8 a[118:119], v8 offset:20480              // 00000000A520: DBC45000 76000008
	v_mfma_f32_32x32x64_f8f6f4 v[48:63], a[136:143], a[64:71], v[48:63]// 00000000A528: D3AE0030 1CC28188
	ds_read_b64_tr_b8 a[120:121], v5 offset:3072               // 00000000A530: DBC40C00 78000005
	ds_read_b64_tr_b8 a[122:123], v6 offset:3072               // 00000000A538: DBC40C00 7A000006
	ds_read_b64_tr_b8 a[124:125], v5 offset:21504              // 00000000A540: DBC45400 7C000005
	ds_read_b64_tr_b8 a[126:127], v6 offset:21504              // 00000000A548: DBC45400 7E000006
	ds_read_b64_tr_b8 a[128:129], v7 offset:3072               // 00000000A550: DBC40C00 80000007
	ds_read_b64_tr_b8 a[130:131], v8 offset:3072               // 00000000A558: DBC40C00 82000008
	ds_read_b64_tr_b8 a[132:133], v7 offset:21504              // 00000000A560: DBC45400 84000007
	ds_read_b64_tr_b8 a[134:135], v8 offset:21504              // 00000000A568: DBC45400 86000008
	s_cmp_le_i32 s83, s82                                      // 00000000A570: BF055253
	s_cbranch_scc1 label_84C8                                  // 00000000A574: BF8500D4
	v_mov_b32_e32 v28, s82                                     // 00000000A578: 7E380252
	s_cmp_eq_i32 s81, 1                                        // 00000000A57C: BF008151
	s_cbranch_scc1 label_81A4                                  // 00000000A580: BF850008
	s_cmp_eq_i32 s81, 2                                        // 00000000A584: BF008251
	s_cbranch_scc1 label_8198                                  // 00000000A588: BF850003
	v_add_i32 v28, s7, v28                                     // 00000000A58C: D29C001C 00023807
	s_branch label_81A4                                        // 00000000A594: BF820003

000000000000a598 <label_8198>:
	s_lshr_b32 s56, s7, 1                                      // 00000000A598: 8F388107
	v_add_u32_e32 v28, s56, v28                                // 00000000A59C: 68383838
	s_branch label_81A4                                        // 00000000A5A0: BF820000

000000000000a5a4 <label_81A4>:
	s_sub_u32 s56, s83, 63                                     // 00000000A5A4: 80B8BF53
	v_lshrrev_b32_e32 v223, 5, v0                              // 00000000A5A8: 21BE0085
	v_mul_i32_i24_e32 v223, 4, v223                            // 00000000A5AC: 0DBFBE84
	v_add_u32_e32 v223, s56, v223                              // 00000000A5B0: 69BFBE38
	v_add_u32_e32 v224, 1, v223                                // 00000000A5B4: 69C1BE81
	v_add_u32_e32 v225, 2, v223                                // 00000000A5B8: 69C3BE82
	v_add_u32_e32 v226, 3, v223                                // 00000000A5BC: 69C5BE83
	v_mov_b32_e32 v31, 0xff800000                              // 00000000A5C0: 7E3E02FF FF800000
	v_cmp_le_i32_e64 s[36:37], v223, v28                       // 00000000A5C8: D0C30024 000239DF
	s_nop 0                                                    // 00000000A5D0: BF800000
	v_cndmask_b32_e64 v32, v31, v32, s[36:37]                  // 00000000A5D4: D1000020 0092411F
	v_add_u32_e32 v223, 8, v223                                // 00000000A5DC: 69BFBE88
	v_cmp_le_i32_e64 s[36:37], v224, v28                       // 00000000A5E0: D0C30024 000239E0
	s_nop 0                                                    // 00000000A5E8: BF800000
	v_cndmask_b32_e64 v33, v31, v33, s[36:37]                  // 00000000A5EC: D1000021 0092431F
	v_add_u32_e32 v224, 8, v224                                // 00000000A5F4: 69C1C088
	v_cmp_le_i32_e64 s[36:37], v225, v28                       // 00000000A5F8: D0C30024 000239E1
	s_nop 0                                                    // 00000000A600: BF800000
	v_cndmask_b32_e64 v34, v31, v34, s[36:37]                  // 00000000A604: D1000022 0092451F
	v_add_u32_e32 v225, 8, v225                                // 00000000A60C: 69C3C288
	v_cmp_le_i32_e64 s[36:37], v226, v28                       // 00000000A610: D0C30024 000239E2
	s_nop 0                                                    // 00000000A618: BF800000
	v_cndmask_b32_e64 v35, v31, v35, s[36:37]                  // 00000000A61C: D1000023 0092471F
	v_add_u32_e32 v226, 8, v226                                // 00000000A624: 69C5C488
	v_cmp_le_i32_e64 s[36:37], v223, v28                       // 00000000A628: D0C30024 000239DF
	s_nop 0                                                    // 00000000A630: BF800000
	v_cndmask_b32_e64 v36, v31, v36, s[36:37]                  // 00000000A634: D1000024 0092491F
	v_add_u32_e32 v223, 8, v223                                // 00000000A63C: 69BFBE88
	v_cmp_le_i32_e64 s[36:37], v224, v28                       // 00000000A640: D0C30024 000239E0
	s_nop 0                                                    // 00000000A648: BF800000
	v_cndmask_b32_e64 v37, v31, v37, s[36:37]                  // 00000000A64C: D1000025 00924B1F
	v_add_u32_e32 v224, 8, v224                                // 00000000A654: 69C1C088
	v_cmp_le_i32_e64 s[36:37], v225, v28                       // 00000000A658: D0C30024 000239E1
	s_nop 0                                                    // 00000000A660: BF800000
	v_cndmask_b32_e64 v38, v31, v38, s[36:37]                  // 00000000A664: D1000026 00924D1F
	v_add_u32_e32 v225, 8, v225                                // 00000000A66C: 69C3C288
	v_cmp_le_i32_e64 s[36:37], v226, v28                       // 00000000A670: D0C30024 000239E2
	s_nop 0                                                    // 00000000A678: BF800000
	v_cndmask_b32_e64 v39, v31, v39, s[36:37]                  // 00000000A67C: D1000027 00924F1F
	v_add_u32_e32 v226, 8, v226                                // 00000000A684: 69C5C488
	v_cmp_le_i32_e64 s[36:37], v223, v28                       // 00000000A688: D0C30024 000239DF
	s_nop 0                                                    // 00000000A690: BF800000
	v_cndmask_b32_e64 v40, v31, v40, s[36:37]                  // 00000000A694: D1000028 0092511F
	v_add_u32_e32 v223, 8, v223                                // 00000000A69C: 69BFBE88
	v_cmp_le_i32_e64 s[36:37], v224, v28                       // 00000000A6A0: D0C30024 000239E0
	s_nop 0                                                    // 00000000A6A8: BF800000
	v_cndmask_b32_e64 v41, v31, v41, s[36:37]                  // 00000000A6AC: D1000029 0092531F
	v_add_u32_e32 v224, 8, v224                                // 00000000A6B4: 69C1C088
	v_cmp_le_i32_e64 s[36:37], v225, v28                       // 00000000A6B8: D0C30024 000239E1
	s_nop 0                                                    // 00000000A6C0: BF800000
	v_cndmask_b32_e64 v42, v31, v42, s[36:37]                  // 00000000A6C4: D100002A 0092551F
	v_add_u32_e32 v225, 8, v225                                // 00000000A6CC: 69C3C288
	v_cmp_le_i32_e64 s[36:37], v226, v28                       // 00000000A6D0: D0C30024 000239E2
	s_nop 0                                                    // 00000000A6D8: BF800000
	v_cndmask_b32_e64 v43, v31, v43, s[36:37]                  // 00000000A6DC: D100002B 0092571F
	v_add_u32_e32 v226, 8, v226                                // 00000000A6E4: 69C5C488
	v_cmp_le_i32_e64 s[36:37], v223, v28                       // 00000000A6E8: D0C30024 000239DF
	s_nop 0                                                    // 00000000A6F0: BF800000
	v_cndmask_b32_e64 v44, v31, v44, s[36:37]                  // 00000000A6F4: D100002C 0092591F
	v_add_u32_e32 v223, 8, v223                                // 00000000A6FC: 69BFBE88
	v_cmp_le_i32_e64 s[36:37], v224, v28                       // 00000000A700: D0C30024 000239E0
	s_nop 0                                                    // 00000000A708: BF800000
	v_cndmask_b32_e64 v45, v31, v45, s[36:37]                  // 00000000A70C: D100002D 00925B1F
	v_add_u32_e32 v224, 8, v224                                // 00000000A714: 69C1C088
	v_cmp_le_i32_e64 s[36:37], v225, v28                       // 00000000A718: D0C30024 000239E1
	s_nop 0                                                    // 00000000A720: BF800000
	v_cndmask_b32_e64 v46, v31, v46, s[36:37]                  // 00000000A724: D100002E 00925D1F
	v_add_u32_e32 v225, 8, v225                                // 00000000A72C: 69C3C288
	v_cmp_le_i32_e64 s[36:37], v226, v28                       // 00000000A730: D0C30024 000239E2
	s_nop 0                                                    // 00000000A738: BF800000
	v_cndmask_b32_e64 v47, v31, v47, s[36:37]                  // 00000000A73C: D100002F 00925F1F
	v_add_u32_e32 v226, 8, v226                                // 00000000A744: 69C5C488
	v_cmp_le_i32_e64 s[36:37], v223, v28                       // 00000000A748: D0C30024 000239DF
	s_nop 0                                                    // 00000000A750: BF800000
	v_cndmask_b32_e64 v48, v31, v48, s[36:37]                  // 00000000A754: D1000030 0092611F
	v_add_u32_e32 v223, 8, v223                                // 00000000A75C: 69BFBE88
	v_cmp_le_i32_e64 s[36:37], v224, v28                       // 00000000A760: D0C30024 000239E0
	s_nop 0                                                    // 00000000A768: BF800000
	v_cndmask_b32_e64 v49, v31, v49, s[36:37]                  // 00000000A76C: D1000031 0092631F
	v_add_u32_e32 v224, 8, v224                                // 00000000A774: 69C1C088
	v_cmp_le_i32_e64 s[36:37], v225, v28                       // 00000000A778: D0C30024 000239E1
	s_nop 0                                                    // 00000000A780: BF800000
	v_cndmask_b32_e64 v50, v31, v50, s[36:37]                  // 00000000A784: D1000032 0092651F
	v_add_u32_e32 v225, 8, v225                                // 00000000A78C: 69C3C288
	v_cmp_le_i32_e64 s[36:37], v226, v28                       // 00000000A790: D0C30024 000239E2
	s_nop 0                                                    // 00000000A798: BF800000
	v_cndmask_b32_e64 v51, v31, v51, s[36:37]                  // 00000000A79C: D1000033 0092671F
	v_add_u32_e32 v226, 8, v226                                // 00000000A7A4: 69C5C488
	v_cmp_le_i32_e64 s[36:37], v223, v28                       // 00000000A7A8: D0C30024 000239DF
	s_nop 0                                                    // 00000000A7B0: BF800000
	v_cndmask_b32_e64 v52, v31, v52, s[36:37]                  // 00000000A7B4: D1000034 0092691F
	v_add_u32_e32 v223, 8, v223                                // 00000000A7BC: 69BFBE88
	v_cmp_le_i32_e64 s[36:37], v224, v28                       // 00000000A7C0: D0C30024 000239E0
	s_nop 0                                                    // 00000000A7C8: BF800000
	v_cndmask_b32_e64 v53, v31, v53, s[36:37]                  // 00000000A7CC: D1000035 00926B1F
	v_add_u32_e32 v224, 8, v224                                // 00000000A7D4: 69C1C088
	v_cmp_le_i32_e64 s[36:37], v225, v28                       // 00000000A7D8: D0C30024 000239E1
	s_nop 0                                                    // 00000000A7E0: BF800000
	v_cndmask_b32_e64 v54, v31, v54, s[36:37]                  // 00000000A7E4: D1000036 00926D1F
	v_add_u32_e32 v225, 8, v225                                // 00000000A7EC: 69C3C288
	v_cmp_le_i32_e64 s[36:37], v226, v28                       // 00000000A7F0: D0C30024 000239E2
	s_nop 0                                                    // 00000000A7F8: BF800000
	v_cndmask_b32_e64 v55, v31, v55, s[36:37]                  // 00000000A7FC: D1000037 00926F1F
	v_add_u32_e32 v226, 8, v226                                // 00000000A804: 69C5C488
	v_cmp_le_i32_e64 s[36:37], v223, v28                       // 00000000A808: D0C30024 000239DF
	s_nop 0                                                    // 00000000A810: BF800000
	v_cndmask_b32_e64 v56, v31, v56, s[36:37]                  // 00000000A814: D1000038 0092711F
	v_add_u32_e32 v223, 8, v223                                // 00000000A81C: 69BFBE88
	v_cmp_le_i32_e64 s[36:37], v224, v28                       // 00000000A820: D0C30024 000239E0
	s_nop 0                                                    // 00000000A828: BF800000
	v_cndmask_b32_e64 v57, v31, v57, s[36:37]                  // 00000000A82C: D1000039 0092731F
	v_add_u32_e32 v224, 8, v224                                // 00000000A834: 69C1C088
	v_cmp_le_i32_e64 s[36:37], v225, v28                       // 00000000A838: D0C30024 000239E1
	s_nop 0                                                    // 00000000A840: BF800000
	v_cndmask_b32_e64 v58, v31, v58, s[36:37]                  // 00000000A844: D100003A 0092751F
	v_add_u32_e32 v225, 8, v225                                // 00000000A84C: 69C3C288
	v_cmp_le_i32_e64 s[36:37], v226, v28                       // 00000000A850: D0C30024 000239E2
	s_nop 0                                                    // 00000000A858: BF800000
	v_cndmask_b32_e64 v59, v31, v59, s[36:37]                  // 00000000A85C: D100003B 0092771F
	v_add_u32_e32 v226, 8, v226                                // 00000000A864: 69C5C488
	v_cmp_le_i32_e64 s[36:37], v223, v28                       // 00000000A868: D0C30024 000239DF
	s_nop 0                                                    // 00000000A870: BF800000
	v_cndmask_b32_e64 v60, v31, v60, s[36:37]                  // 00000000A874: D100003C 0092791F
	v_add_u32_e32 v223, 8, v223                                // 00000000A87C: 69BFBE88
	v_cmp_le_i32_e64 s[36:37], v224, v28                       // 00000000A880: D0C30024 000239E0
	s_nop 0                                                    // 00000000A888: BF800000
	v_cndmask_b32_e64 v61, v31, v61, s[36:37]                  // 00000000A88C: D100003D 00927B1F
	v_add_u32_e32 v224, 8, v224                                // 00000000A894: 69C1C088
	v_cmp_le_i32_e64 s[36:37], v225, v28                       // 00000000A898: D0C30024 000239E1
	s_nop 0                                                    // 00000000A8A0: BF800000
	v_cndmask_b32_e64 v62, v31, v62, s[36:37]                  // 00000000A8A4: D100003E 00927D1F
	v_add_u32_e32 v225, 8, v225                                // 00000000A8AC: 69C3C288
	v_cmp_le_i32_e64 s[36:37], v226, v28                       // 00000000A8B0: D0C30024 000239E2
	s_nop 0                                                    // 00000000A8B8: BF800000
	v_cndmask_b32_e64 v63, v31, v63, s[36:37]                  // 00000000A8BC: D100003F 00927F1F
	v_add_u32_e32 v226, 8, v226                                // 00000000A8C4: 69C5C488

000000000000a8c8 <label_84C8>:
	s_add_u32 s83, s84, s83                                    // 00000000A8C8: 80535354
	s_nop 2                                                    // 00000000A8CC: BF800002
	v_mov_b32_e32 v29, v32                                     // 00000000A8D0: 7E3A0320
	v_max3_f32 v29, v32, v33, v29                              // 00000000A8D4: D1D3001D 04764320
	v_max3_f32 v29, v34, v35, v29                              // 00000000A8DC: D1D3001D 04764722
	v_max3_f32 v29, v36, v37, v29                              // 00000000A8E4: D1D3001D 04764B24
	v_max3_f32 v29, v38, v39, v29                              // 00000000A8EC: D1D3001D 04764F26
	v_max3_f32 v29, v40, v41, v29                              // 00000000A8F4: D1D3001D 04765328
	v_max3_f32 v29, v42, v43, v29                              // 00000000A8FC: D1D3001D 0476572A
	v_max3_f32 v29, v44, v45, v29                              // 00000000A904: D1D3001D 04765B2C
	v_max3_f32 v29, v46, v47, v29                              // 00000000A90C: D1D3001D 04765F2E
	v_max3_f32 v29, v48, v49, v29                              // 00000000A914: D1D3001D 04766330
	v_max3_f32 v29, v50, v51, v29                              // 00000000A91C: D1D3001D 04766732
	v_max3_f32 v29, v52, v53, v29                              // 00000000A924: D1D3001D 04766B34
	v_max3_f32 v29, v54, v55, v29                              // 00000000A92C: D1D3001D 04766F36
	v_max3_f32 v29, v56, v57, v29                              // 00000000A934: D1D3001D 04767338
	v_max3_f32 v29, v58, v59, v29                              // 00000000A93C: D1D3001D 0476773A
	v_max3_f32 v29, v60, v61, v29                              // 00000000A944: D1D3001D 04767B3C
	v_max3_f32 v29, v62, v63, v29                              // 00000000A94C: D1D3001D 04767F3E
	v_mov_b32_e32 v28, v29                                     // 00000000A954: 7E38031D
	v_mov_b32_e32 v29, v29                                     // 00000000A958: 7E3A031D
	s_nop 1                                                    // 00000000A95C: BF800001
	v_permlane32_swap_b32_e32 v28, v29                         // 00000000A960: 7E38B51D
	v_max3_f32 v29, v28, v29, v29                              // 00000000A964: D1D3001D 04763B1C
	v_mov_b32_e32 v28, 0xff800000                              // 00000000A96C: 7E3802FF FF800000
	v_cmp_eq_u32_e64 s[36:37], v28, v2                         // 00000000A974: D0CA0024 0002051C
	v_max_f32_e32 v29, v29, v2                                 // 00000000A97C: 163A051D
	v_sub_f32_e32 v17, v2, v29                                 // 00000000A980: 04223B02
	v_cndmask_b32_e64 v17, v17, 0, s[36:37]                    // 00000000A984: D1000011 00910111
	v_mov_b32_e32 v2, v29                                      // 00000000A98C: 7E04031D
	v_mul_f32_e32 v29, s5, v29                                 // 00000000A990: 0A3A3A05
	v_mul_f32_e32 v17, s5, v17                                 // 00000000A994: 0A222205
	v_exp_f32_e32 v17, v17                                     // 00000000A998: 7E224111
	v_fma_f32 v32, v32, s5, -v29                               // 00000000A99C: D1CB0020 84740B20
	v_fma_f32 v33, v33, s5, -v29                               // 00000000A9A4: D1CB0021 84740B21
	v_fma_f32 v34, v34, s5, -v29                               // 00000000A9AC: D1CB0022 84740B22
	v_fma_f32 v35, v35, s5, -v29                               // 00000000A9B4: D1CB0023 84740B23
	v_fma_f32 v36, v36, s5, -v29                               // 00000000A9BC: D1CB0024 84740B24
	v_fma_f32 v37, v37, s5, -v29                               // 00000000A9C4: D1CB0025 84740B25
	v_fma_f32 v38, v38, s5, -v29                               // 00000000A9CC: D1CB0026 84740B26
	v_fma_f32 v39, v39, s5, -v29                               // 00000000A9D4: D1CB0027 84740B27
	v_fma_f32 v40, v40, s5, -v29                               // 00000000A9DC: D1CB0028 84740B28
	v_fma_f32 v41, v41, s5, -v29                               // 00000000A9E4: D1CB0029 84740B29
	v_fma_f32 v42, v42, s5, -v29                               // 00000000A9EC: D1CB002A 84740B2A
	v_fma_f32 v43, v43, s5, -v29                               // 00000000A9F4: D1CB002B 84740B2B
	v_fma_f32 v44, v44, s5, -v29                               // 00000000A9FC: D1CB002C 84740B2C
	v_fma_f32 v45, v45, s5, -v29                               // 00000000AA04: D1CB002D 84740B2D
	v_fma_f32 v46, v46, s5, -v29                               // 00000000AA0C: D1CB002E 84740B2E
	v_fma_f32 v47, v47, s5, -v29                               // 00000000AA14: D1CB002F 84740B2F
	v_fma_f32 v48, v48, s5, -v29                               // 00000000AA1C: D1CB0030 84740B30
	v_fma_f32 v49, v49, s5, -v29                               // 00000000AA24: D1CB0031 84740B31
	v_fma_f32 v50, v50, s5, -v29                               // 00000000AA2C: D1CB0032 84740B32
	v_fma_f32 v51, v51, s5, -v29                               // 00000000AA34: D1CB0033 84740B33
	v_fma_f32 v52, v52, s5, -v29                               // 00000000AA3C: D1CB0034 84740B34
	v_fma_f32 v53, v53, s5, -v29                               // 00000000AA44: D1CB0035 84740B35
	v_fma_f32 v54, v54, s5, -v29                               // 00000000AA4C: D1CB0036 84740B36
	v_fma_f32 v55, v55, s5, -v29                               // 00000000AA54: D1CB0037 84740B37
	v_fma_f32 v56, v56, s5, -v29                               // 00000000AA5C: D1CB0038 84740B38
	v_fma_f32 v57, v57, s5, -v29                               // 00000000AA64: D1CB0039 84740B39
	v_fma_f32 v58, v58, s5, -v29                               // 00000000AA6C: D1CB003A 84740B3A
	v_fma_f32 v59, v59, s5, -v29                               // 00000000AA74: D1CB003B 84740B3B
	v_fma_f32 v60, v60, s5, -v29                               // 00000000AA7C: D1CB003C 84740B3C
	v_fma_f32 v61, v61, s5, -v29                               // 00000000AA84: D1CB003D 84740B3D
	v_fma_f32 v62, v62, s5, -v29                               // 00000000AA8C: D1CB003E 84740B3E
	v_fma_f32 v63, v63, s5, -v29                               // 00000000AA94: D1CB003F 84740B3F
	v_exp_f32_e32 v32, v32                                     // 00000000AA9C: 7E404120
	v_exp_f32_e32 v33, v33                                     // 00000000AAA0: 7E424121
	v_exp_f32_e32 v34, v34                                     // 00000000AAA4: 7E444122
	v_exp_f32_e32 v35, v35                                     // 00000000AAA8: 7E464123
	v_exp_f32_e32 v36, v36                                     // 00000000AAAC: 7E484124
	v_exp_f32_e32 v37, v37                                     // 00000000AAB0: 7E4A4125
	v_exp_f32_e32 v38, v38                                     // 00000000AAB4: 7E4C4126
	v_exp_f32_e32 v39, v39                                     // 00000000AAB8: 7E4E4127
	v_exp_f32_e32 v40, v40                                     // 00000000AABC: 7E504128
	v_exp_f32_e32 v41, v41                                     // 00000000AAC0: 7E524129
	v_exp_f32_e32 v42, v42                                     // 00000000AAC4: 7E54412A
	v_exp_f32_e32 v43, v43                                     // 00000000AAC8: 7E56412B
	v_exp_f32_e32 v44, v44                                     // 00000000AACC: 7E58412C
	v_exp_f32_e32 v45, v45                                     // 00000000AAD0: 7E5A412D
	v_exp_f32_e32 v46, v46                                     // 00000000AAD4: 7E5C412E
	v_exp_f32_e32 v47, v47                                     // 00000000AAD8: 7E5E412F
	v_exp_f32_e32 v48, v48                                     // 00000000AADC: 7E604130
	v_exp_f32_e32 v49, v49                                     // 00000000AAE0: 7E624131
	v_exp_f32_e32 v50, v50                                     // 00000000AAE4: 7E644132
	v_exp_f32_e32 v51, v51                                     // 00000000AAE8: 7E664133
	v_exp_f32_e32 v52, v52                                     // 00000000AAEC: 7E684134
	v_exp_f32_e32 v53, v53                                     // 00000000AAF0: 7E6A4135
	v_exp_f32_e32 v54, v54                                     // 00000000AAF4: 7E6C4136
	v_exp_f32_e32 v55, v55                                     // 00000000AAF8: 7E6E4137
	v_exp_f32_e32 v56, v56                                     // 00000000AAFC: 7E704138
	v_exp_f32_e32 v57, v57                                     // 00000000AB00: 7E724139
	v_exp_f32_e32 v58, v58                                     // 00000000AB04: 7E74413A
	v_exp_f32_e32 v59, v59                                     // 00000000AB08: 7E76413B
	v_exp_f32_e32 v60, v60                                     // 00000000AB0C: 7E78413C
	v_exp_f32_e32 v61, v61                                     // 00000000AB10: 7E7A413D
	v_exp_f32_e32 v62, v62                                     // 00000000AB14: 7E7C413E
	v_exp_f32_e32 v63, v63                                     // 00000000AB18: 7E7E413F
	v_mul_f32_e32 v4, v17, v4                                  // 00000000AB1C: 0A080911
	v_mov_b32_e32 v28, v32                                     // 00000000AB20: 7E380320
	v_add_f32_e32 v28, v33, v28                                // 00000000AB24: 02383921
	v_add_f32_e32 v28, v34, v28                                // 00000000AB28: 02383922
	v_add_f32_e32 v28, v35, v28                                // 00000000AB2C: 02383923
	v_add_f32_e32 v28, v36, v28                                // 00000000AB30: 02383924
	v_add_f32_e32 v28, v37, v28                                // 00000000AB34: 02383925
	v_add_f32_e32 v28, v38, v28                                // 00000000AB38: 02383926
	v_add_f32_e32 v28, v39, v28                                // 00000000AB3C: 02383927
	v_add_f32_e32 v28, v40, v28                                // 00000000AB40: 02383928
	v_add_f32_e32 v28, v41, v28                                // 00000000AB44: 02383929
	v_add_f32_e32 v28, v42, v28                                // 00000000AB48: 0238392A
	v_add_f32_e32 v28, v43, v28                                // 00000000AB4C: 0238392B
	v_add_f32_e32 v28, v44, v28                                // 00000000AB50: 0238392C
	v_add_f32_e32 v28, v45, v28                                // 00000000AB54: 0238392D
	v_add_f32_e32 v28, v46, v28                                // 00000000AB58: 0238392E
	v_add_f32_e32 v28, v47, v28                                // 00000000AB5C: 0238392F
	v_add_f32_e32 v28, v48, v28                                // 00000000AB60: 02383930
	v_add_f32_e32 v28, v49, v28                                // 00000000AB64: 02383931
	v_add_f32_e32 v28, v50, v28                                // 00000000AB68: 02383932
	v_add_f32_e32 v28, v51, v28                                // 00000000AB6C: 02383933
	v_add_f32_e32 v28, v52, v28                                // 00000000AB70: 02383934
	v_add_f32_e32 v28, v53, v28                                // 00000000AB74: 02383935
	v_add_f32_e32 v28, v54, v28                                // 00000000AB78: 02383936
	v_add_f32_e32 v28, v55, v28                                // 00000000AB7C: 02383937
	v_add_f32_e32 v28, v56, v28                                // 00000000AB80: 02383938
	v_add_f32_e32 v28, v57, v28                                // 00000000AB84: 02383939
	v_add_f32_e32 v28, v58, v28                                // 00000000AB88: 0238393A
	v_add_f32_e32 v28, v59, v28                                // 00000000AB8C: 0238393B
	v_add_f32_e32 v28, v60, v28                                // 00000000AB90: 0238393C
	v_add_f32_e32 v28, v61, v28                                // 00000000AB94: 0238393D
	v_add_f32_e32 v28, v62, v28                                // 00000000AB98: 0238393E
	v_add_f32_e32 v28, v63, v28                                // 00000000AB9C: 0238393F
	v_add_f32_e32 v4, v28, v4                                  // 00000000ABA0: 0208091C
	v_cvt_pk_fp8_f32 v32, v32, v33                             // 00000000ABA4: D2A20020 00024320
	v_cvt_pk_fp8_f32 v32, v34, v35 op_sel:[0,0,1]              // 00000000ABAC: D2A24020 00024722
	v_cvt_pk_fp8_f32 v33, v36, v37                             // 00000000ABB4: D2A20021 00024B24
	v_cvt_pk_fp8_f32 v33, v38, v39 op_sel:[0,0,1]              // 00000000ABBC: D2A24021 00024F26
	v_cvt_pk_fp8_f32 v34, v40, v41                             // 00000000ABC4: D2A20022 00025328
	v_cvt_pk_fp8_f32 v34, v42, v43 op_sel:[0,0,1]              // 00000000ABCC: D2A24022 0002572A
	v_cvt_pk_fp8_f32 v35, v44, v45                             // 00000000ABD4: D2A20023 00025B2C
	v_cvt_pk_fp8_f32 v35, v46, v47 op_sel:[0,0,1]              // 00000000ABDC: D2A24023 00025F2E
	v_cvt_pk_fp8_f32 v36, v48, v49                             // 00000000ABE4: D2A20024 00026330
	v_cvt_pk_fp8_f32 v36, v50, v51 op_sel:[0,0,1]              // 00000000ABEC: D2A24024 00026732
	v_cvt_pk_fp8_f32 v37, v52, v53                             // 00000000ABF4: D2A20025 00026B34
	v_cvt_pk_fp8_f32 v37, v54, v55 op_sel:[0,0,1]              // 00000000ABFC: D2A24025 00026F36
	v_cvt_pk_fp8_f32 v38, v56, v57                             // 00000000AC04: D2A20026 00027338
	v_cvt_pk_fp8_f32 v38, v58, v59 op_sel:[0,0,1]              // 00000000AC0C: D2A24026 0002773A
	v_cvt_pk_fp8_f32 v39, v60, v61                             // 00000000AC14: D2A20027 00027B3C
	v_cvt_pk_fp8_f32 v39, v62, v63 op_sel:[0,0,1]              // 00000000AC1C: D2A24027 00027F3E
	v_permlane32_swap_b32_e32 v32, v34                         // 00000000AC24: 7E40B522
	v_permlane32_swap_b32_e32 v33, v35                         // 00000000AC28: 7E42B523
	v_swap_b32 v33, v34                                        // 00000000AC2C: 7E42A322
	v_permlane32_swap_b32_e32 v36, v38                         // 00000000AC30: 7E48B526
	v_permlane32_swap_b32_e32 v37, v39                         // 00000000AC34: 7E4AB527
	v_swap_b32 v37, v38                                        // 00000000AC38: 7E4AA326
	v_mov_b32_e32 v28, v17                                     // 00000000AC3C: 7E380311
	v_mul_f32_e32 v64, v28, v64                                // 00000000AC40: 0A80811C
	v_mul_f32_e32 v65, v28, v65                                // 00000000AC44: 0A82831C
	v_mul_f32_e32 v66, v28, v66                                // 00000000AC48: 0A84851C
	v_mul_f32_e32 v67, v28, v67                                // 00000000AC4C: 0A86871C
	v_mul_f32_e32 v68, v28, v68                                // 00000000AC50: 0A88891C
	v_mul_f32_e32 v69, v28, v69                                // 00000000AC54: 0A8A8B1C
	v_mul_f32_e32 v70, v28, v70                                // 00000000AC58: 0A8C8D1C
	v_mul_f32_e32 v71, v28, v71                                // 00000000AC5C: 0A8E8F1C
	v_mul_f32_e32 v72, v28, v72                                // 00000000AC60: 0A90911C
	v_mul_f32_e32 v73, v28, v73                                // 00000000AC64: 0A92931C
	v_mul_f32_e32 v74, v28, v74                                // 00000000AC68: 0A94951C
	v_mul_f32_e32 v75, v28, v75                                // 00000000AC6C: 0A96971C
	v_mul_f32_e32 v76, v28, v76                                // 00000000AC70: 0A98991C
	v_mul_f32_e32 v77, v28, v77                                // 00000000AC74: 0A9A9B1C
	v_mul_f32_e32 v78, v28, v78                                // 00000000AC78: 0A9C9D1C
	v_mul_f32_e32 v79, v28, v79                                // 00000000AC7C: 0A9E9F1C
	v_mul_f32_e32 v80, v28, v80                                // 00000000AC80: 0AA0A11C
	v_mul_f32_e32 v81, v28, v81                                // 00000000AC84: 0AA2A31C
	v_mul_f32_e32 v82, v28, v82                                // 00000000AC88: 0AA4A51C
	v_mul_f32_e32 v83, v28, v83                                // 00000000AC8C: 0AA6A71C
	v_mul_f32_e32 v84, v28, v84                                // 00000000AC90: 0AA8A91C
	v_mul_f32_e32 v85, v28, v85                                // 00000000AC94: 0AAAAB1C
	v_mul_f32_e32 v86, v28, v86                                // 00000000AC98: 0AACAD1C
	v_mul_f32_e32 v87, v28, v87                                // 00000000AC9C: 0AAEAF1C
	v_mul_f32_e32 v88, v28, v88                                // 00000000ACA0: 0AB0B11C
	v_mul_f32_e32 v89, v28, v89                                // 00000000ACA4: 0AB2B31C
	v_mul_f32_e32 v90, v28, v90                                // 00000000ACA8: 0AB4B51C
	v_mul_f32_e32 v91, v28, v91                                // 00000000ACAC: 0AB6B71C
	v_mul_f32_e32 v92, v28, v92                                // 00000000ACB0: 0AB8B91C
	v_mul_f32_e32 v93, v28, v93                                // 00000000ACB4: 0ABABB1C
	v_mul_f32_e32 v94, v28, v94                                // 00000000ACB8: 0ABCBD1C
	v_mul_f32_e32 v95, v28, v95                                // 00000000ACBC: 0ABEBF1C
	v_mul_f32_e32 v96, v28, v96                                // 00000000ACC0: 0AC0C11C
	v_mul_f32_e32 v97, v28, v97                                // 00000000ACC4: 0AC2C31C
	v_mul_f32_e32 v98, v28, v98                                // 00000000ACC8: 0AC4C51C
	v_mul_f32_e32 v99, v28, v99                                // 00000000ACCC: 0AC6C71C
	v_mul_f32_e32 v100, v28, v100                              // 00000000ACD0: 0AC8C91C
	v_mul_f32_e32 v101, v28, v101                              // 00000000ACD4: 0ACACB1C
	v_mul_f32_e32 v102, v28, v102                              // 00000000ACD8: 0ACCCD1C
	v_mul_f32_e32 v103, v28, v103                              // 00000000ACDC: 0ACECF1C
	v_mul_f32_e32 v104, v28, v104                              // 00000000ACE0: 0AD0D11C
	v_mul_f32_e32 v105, v28, v105                              // 00000000ACE4: 0AD2D31C
	v_mul_f32_e32 v106, v28, v106                              // 00000000ACE8: 0AD4D51C
	v_mul_f32_e32 v107, v28, v107                              // 00000000ACEC: 0AD6D71C
	v_mul_f32_e32 v108, v28, v108                              // 00000000ACF0: 0AD8D91C
	v_mul_f32_e32 v109, v28, v109                              // 00000000ACF4: 0ADADB1C
	v_mul_f32_e32 v110, v28, v110                              // 00000000ACF8: 0ADCDD1C
	v_mul_f32_e32 v111, v28, v111                              // 00000000ACFC: 0ADEDF1C
	v_mul_f32_e32 v112, v28, v112                              // 00000000AD00: 0AE0E11C
	v_mul_f32_e32 v113, v28, v113                              // 00000000AD04: 0AE2E31C
	v_mul_f32_e32 v114, v28, v114                              // 00000000AD08: 0AE4E51C
	v_mul_f32_e32 v115, v28, v115                              // 00000000AD0C: 0AE6E71C
	v_mul_f32_e32 v116, v28, v116                              // 00000000AD10: 0AE8E91C
	v_mul_f32_e32 v117, v28, v117                              // 00000000AD14: 0AEAEB1C
	v_mul_f32_e32 v118, v28, v118                              // 00000000AD18: 0AECED1C
	v_mul_f32_e32 v119, v28, v119                              // 00000000AD1C: 0AEEEF1C
	v_mul_f32_e32 v120, v28, v120                              // 00000000AD20: 0AF0F11C
	v_mul_f32_e32 v121, v28, v121                              // 00000000AD24: 0AF2F31C
	v_mul_f32_e32 v122, v28, v122                              // 00000000AD28: 0AF4F51C
	v_mul_f32_e32 v123, v28, v123                              // 00000000AD2C: 0AF6F71C
	v_mul_f32_e32 v124, v28, v124                              // 00000000AD30: 0AF8F91C
	v_mul_f32_e32 v125, v28, v125                              // 00000000AD34: 0AFAFB1C
	v_mul_f32_e32 v126, v28, v126                              // 00000000AD38: 0AFCFD1C
	v_mul_f32_e32 v127, v28, v127                              // 00000000AD3C: 0AFEFF1C
	v_mul_f32_e32 v128, v28, v128                              // 00000000AD40: 0B01011C
	v_mul_f32_e32 v129, v28, v129                              // 00000000AD44: 0B03031C
	v_mul_f32_e32 v130, v28, v130                              // 00000000AD48: 0B05051C
	v_mul_f32_e32 v131, v28, v131                              // 00000000AD4C: 0B07071C
	v_mul_f32_e32 v132, v28, v132                              // 00000000AD50: 0B09091C
	v_mul_f32_e32 v133, v28, v133                              // 00000000AD54: 0B0B0B1C
	v_mul_f32_e32 v134, v28, v134                              // 00000000AD58: 0B0D0D1C
	v_mul_f32_e32 v135, v28, v135                              // 00000000AD5C: 0B0F0F1C
	v_mul_f32_e32 v136, v28, v136                              // 00000000AD60: 0B11111C
	v_mul_f32_e32 v137, v28, v137                              // 00000000AD64: 0B13131C
	v_mul_f32_e32 v138, v28, v138                              // 00000000AD68: 0B15151C
	v_mul_f32_e32 v139, v28, v139                              // 00000000AD6C: 0B17171C
	v_mul_f32_e32 v140, v28, v140                              // 00000000AD70: 0B19191C
	v_mul_f32_e32 v141, v28, v141                              // 00000000AD74: 0B1B1B1C
	v_mul_f32_e32 v142, v28, v142                              // 00000000AD78: 0B1D1D1C
	v_mul_f32_e32 v143, v28, v143                              // 00000000AD7C: 0B1F1F1C
	v_mul_f32_e32 v144, v28, v144                              // 00000000AD80: 0B21211C
	v_mul_f32_e32 v145, v28, v145                              // 00000000AD84: 0B23231C
	v_mul_f32_e32 v146, v28, v146                              // 00000000AD88: 0B25251C
	v_mul_f32_e32 v147, v28, v147                              // 00000000AD8C: 0B27271C
	v_mul_f32_e32 v148, v28, v148                              // 00000000AD90: 0B29291C
	v_mul_f32_e32 v149, v28, v149                              // 00000000AD94: 0B2B2B1C
	v_mul_f32_e32 v150, v28, v150                              // 00000000AD98: 0B2D2D1C
	v_mul_f32_e32 v151, v28, v151                              // 00000000AD9C: 0B2F2F1C
	v_mul_f32_e32 v152, v28, v152                              // 00000000ADA0: 0B31311C
	v_mul_f32_e32 v153, v28, v153                              // 00000000ADA4: 0B33331C
	v_mul_f32_e32 v154, v28, v154                              // 00000000ADA8: 0B35351C
	v_mul_f32_e32 v155, v28, v155                              // 00000000ADAC: 0B37371C
	v_mul_f32_e32 v156, v28, v156                              // 00000000ADB0: 0B39391C
	v_mul_f32_e32 v157, v28, v157                              // 00000000ADB4: 0B3B3B1C
	v_mul_f32_e32 v158, v28, v158                              // 00000000ADB8: 0B3D3D1C
	v_mul_f32_e32 v159, v28, v159                              // 00000000ADBC: 0B3F3F1C
	v_mul_f32_e32 v160, v28, v160                              // 00000000ADC0: 0B41411C
	v_mul_f32_e32 v161, v28, v161                              // 00000000ADC4: 0B43431C
	v_mul_f32_e32 v162, v28, v162                              // 00000000ADC8: 0B45451C
	v_mul_f32_e32 v163, v28, v163                              // 00000000ADCC: 0B47471C
	v_mul_f32_e32 v164, v28, v164                              // 00000000ADD0: 0B49491C
	v_mul_f32_e32 v165, v28, v165                              // 00000000ADD4: 0B4B4B1C
	v_mul_f32_e32 v166, v28, v166                              // 00000000ADD8: 0B4D4D1C
	v_mul_f32_e32 v167, v28, v167                              // 00000000ADDC: 0B4F4F1C
	v_mul_f32_e32 v168, v28, v168                              // 00000000ADE0: 0B51511C
	v_mul_f32_e32 v169, v28, v169                              // 00000000ADE4: 0B53531C
	v_mul_f32_e32 v170, v28, v170                              // 00000000ADE8: 0B55551C
	v_mul_f32_e32 v171, v28, v171                              // 00000000ADEC: 0B57571C
	v_mul_f32_e32 v172, v28, v172                              // 00000000ADF0: 0B59591C
	v_mul_f32_e32 v173, v28, v173                              // 00000000ADF4: 0B5B5B1C
	v_mul_f32_e32 v174, v28, v174                              // 00000000ADF8: 0B5D5D1C
	v_mul_f32_e32 v175, v28, v175                              // 00000000ADFC: 0B5F5F1C
	v_mul_f32_e32 v176, v28, v176                              // 00000000AE00: 0B61611C
	v_mul_f32_e32 v177, v28, v177                              // 00000000AE04: 0B63631C
	v_mul_f32_e32 v178, v28, v178                              // 00000000AE08: 0B65651C
	v_mul_f32_e32 v179, v28, v179                              // 00000000AE0C: 0B67671C
	v_mul_f32_e32 v180, v28, v180                              // 00000000AE10: 0B69691C
	v_mul_f32_e32 v181, v28, v181                              // 00000000AE14: 0B6B6B1C
	v_mul_f32_e32 v182, v28, v182                              // 00000000AE18: 0B6D6D1C
	v_mul_f32_e32 v183, v28, v183                              // 00000000AE1C: 0B6F6F1C
	v_mul_f32_e32 v184, v28, v184                              // 00000000AE20: 0B71711C
	v_mul_f32_e32 v185, v28, v185                              // 00000000AE24: 0B73731C
	v_mul_f32_e32 v186, v28, v186                              // 00000000AE28: 0B75751C
	v_mul_f32_e32 v187, v28, v187                              // 00000000AE2C: 0B77771C
	v_mul_f32_e32 v188, v28, v188                              // 00000000AE30: 0B79791C
	v_mul_f32_e32 v189, v28, v189                              // 00000000AE34: 0B7B7B1C
	v_mul_f32_e32 v190, v28, v190                              // 00000000AE38: 0B7D7D1C
	v_mul_f32_e32 v191, v28, v191                              // 00000000AE3C: 0B7F7F1C
	v_mul_f32_e32 v192, v28, v192                              // 00000000AE40: 0B81811C
	v_mul_f32_e32 v193, v28, v193                              // 00000000AE44: 0B83831C
	v_mul_f32_e32 v194, v28, v194                              // 00000000AE48: 0B85851C
	v_mul_f32_e32 v195, v28, v195                              // 00000000AE4C: 0B87871C
	v_mul_f32_e32 v196, v28, v196                              // 00000000AE50: 0B89891C
	v_mul_f32_e32 v197, v28, v197                              // 00000000AE54: 0B8B8B1C
	v_mul_f32_e32 v198, v28, v198                              // 00000000AE58: 0B8D8D1C
	v_mul_f32_e32 v199, v28, v199                              // 00000000AE5C: 0B8F8F1C
	v_mul_f32_e32 v200, v28, v200                              // 00000000AE60: 0B91911C
	v_mul_f32_e32 v201, v28, v201                              // 00000000AE64: 0B93931C
	v_mul_f32_e32 v202, v28, v202                              // 00000000AE68: 0B95951C
	v_mul_f32_e32 v203, v28, v203                              // 00000000AE6C: 0B97971C
	v_mul_f32_e32 v204, v28, v204                              // 00000000AE70: 0B99991C
	v_mul_f32_e32 v205, v28, v205                              // 00000000AE74: 0B9B9B1C
	v_mul_f32_e32 v206, v28, v206                              // 00000000AE78: 0B9D9D1C
	v_mul_f32_e32 v207, v28, v207                              // 00000000AE7C: 0B9F9F1C
	v_mul_f32_e32 v208, v28, v208                              // 00000000AE80: 0BA1A11C
	v_mul_f32_e32 v209, v28, v209                              // 00000000AE84: 0BA3A31C
	v_mul_f32_e32 v210, v28, v210                              // 00000000AE88: 0BA5A51C
	v_mul_f32_e32 v211, v28, v211                              // 00000000AE8C: 0BA7A71C
	v_mul_f32_e32 v212, v28, v212                              // 00000000AE90: 0BA9A91C
	v_mul_f32_e32 v213, v28, v213                              // 00000000AE94: 0BABAB1C
	v_mul_f32_e32 v214, v28, v214                              // 00000000AE98: 0BADAD1C
	v_mul_f32_e32 v215, v28, v215                              // 00000000AE9C: 0BAFAF1C
	v_mul_f32_e32 v216, v28, v216                              // 00000000AEA0: 0BB1B11C
	v_mul_f32_e32 v217, v28, v217                              // 00000000AEA4: 0BB3B31C
	v_mul_f32_e32 v218, v28, v218                              // 00000000AEA8: 0BB5B51C
	v_mul_f32_e32 v219, v28, v219                              // 00000000AEAC: 0BB7B71C
	v_mul_f32_e32 v220, v28, v220                              // 00000000AEB0: 0BB9B91C
	v_mul_f32_e32 v221, v28, v221                              // 00000000AEB4: 0BBBBB1C
	v_mul_f32_e32 v222, v28, v222                              // 00000000AEB8: 0BBDBD1C
	v_mul_f32_e32 v223, v28, v223                              // 00000000AEBC: 0BBFBF1C
	v_accvgpr_read_b32 v29, a144                               // 00000000AEC0: D3D8401D 18000190
	v_mul_f32_e32 v29, v28, v29                                // 00000000AEC8: 0A3A3B1C
	v_accvgpr_write_b32 a144, v29                              // 00000000AECC: D3D94090 1800011D
	v_accvgpr_read_b32 v29, a145                               // 00000000AED4: D3D8401D 18000191
	v_mul_f32_e32 v29, v28, v29                                // 00000000AEDC: 0A3A3B1C
	v_accvgpr_write_b32 a145, v29                              // 00000000AEE0: D3D94091 1800011D
	v_accvgpr_read_b32 v29, a146                               // 00000000AEE8: D3D8401D 18000192
	v_mul_f32_e32 v29, v28, v29                                // 00000000AEF0: 0A3A3B1C
	v_accvgpr_write_b32 a146, v29                              // 00000000AEF4: D3D94092 1800011D
	v_accvgpr_read_b32 v29, a147                               // 00000000AEFC: D3D8401D 18000193
	v_mul_f32_e32 v29, v28, v29                                // 00000000AF04: 0A3A3B1C
	v_accvgpr_write_b32 a147, v29                              // 00000000AF08: D3D94093 1800011D
	v_accvgpr_read_b32 v29, a148                               // 00000000AF10: D3D8401D 18000194
	v_mul_f32_e32 v29, v28, v29                                // 00000000AF18: 0A3A3B1C
	v_accvgpr_write_b32 a148, v29                              // 00000000AF1C: D3D94094 1800011D
	v_accvgpr_read_b32 v29, a149                               // 00000000AF24: D3D8401D 18000195
	v_mul_f32_e32 v29, v28, v29                                // 00000000AF2C: 0A3A3B1C
	v_accvgpr_write_b32 a149, v29                              // 00000000AF30: D3D94095 1800011D
	v_accvgpr_read_b32 v29, a150                               // 00000000AF38: D3D8401D 18000196
	v_mul_f32_e32 v29, v28, v29                                // 00000000AF40: 0A3A3B1C
	v_accvgpr_write_b32 a150, v29                              // 00000000AF44: D3D94096 1800011D
	v_accvgpr_read_b32 v29, a151                               // 00000000AF4C: D3D8401D 18000197
	v_mul_f32_e32 v29, v28, v29                                // 00000000AF54: 0A3A3B1C
	v_accvgpr_write_b32 a151, v29                              // 00000000AF58: D3D94097 1800011D
	v_accvgpr_read_b32 v29, a152                               // 00000000AF60: D3D8401D 18000198
	v_mul_f32_e32 v29, v28, v29                                // 00000000AF68: 0A3A3B1C
	v_accvgpr_write_b32 a152, v29                              // 00000000AF6C: D3D94098 1800011D
	v_accvgpr_read_b32 v29, a153                               // 00000000AF74: D3D8401D 18000199
	v_mul_f32_e32 v29, v28, v29                                // 00000000AF7C: 0A3A3B1C
	v_accvgpr_write_b32 a153, v29                              // 00000000AF80: D3D94099 1800011D
	v_accvgpr_read_b32 v29, a154                               // 00000000AF88: D3D8401D 1800019A
	v_mul_f32_e32 v29, v28, v29                                // 00000000AF90: 0A3A3B1C
	v_accvgpr_write_b32 a154, v29                              // 00000000AF94: D3D9409A 1800011D
	v_accvgpr_read_b32 v29, a155                               // 00000000AF9C: D3D8401D 1800019B
	v_mul_f32_e32 v29, v28, v29                                // 00000000AFA4: 0A3A3B1C
	v_accvgpr_write_b32 a155, v29                              // 00000000AFA8: D3D9409B 1800011D
	v_accvgpr_read_b32 v29, a156                               // 00000000AFB0: D3D8401D 1800019C
	v_mul_f32_e32 v29, v28, v29                                // 00000000AFB8: 0A3A3B1C
	v_accvgpr_write_b32 a156, v29                              // 00000000AFBC: D3D9409C 1800011D
	v_accvgpr_read_b32 v29, a157                               // 00000000AFC4: D3D8401D 1800019D
	v_mul_f32_e32 v29, v28, v29                                // 00000000AFCC: 0A3A3B1C
	v_accvgpr_write_b32 a157, v29                              // 00000000AFD0: D3D9409D 1800011D
	v_accvgpr_read_b32 v29, a158                               // 00000000AFD8: D3D8401D 1800019E
	v_mul_f32_e32 v29, v28, v29                                // 00000000AFE0: 0A3A3B1C
	v_accvgpr_write_b32 a158, v29                              // 00000000AFE4: D3D9409E 1800011D
	v_accvgpr_read_b32 v29, a159                               // 00000000AFEC: D3D8401D 1800019F
	v_mul_f32_e32 v29, v28, v29                                // 00000000AFF4: 0A3A3B1C
	v_accvgpr_write_b32 a159, v29                              // 00000000AFF8: D3D9409F 1800011D
	v_accvgpr_read_b32 v29, a160                               // 00000000B000: D3D8401D 180001A0
	v_mul_f32_e32 v29, v28, v29                                // 00000000B008: 0A3A3B1C
	v_accvgpr_write_b32 a160, v29                              // 00000000B00C: D3D940A0 1800011D
	v_accvgpr_read_b32 v29, a161                               // 00000000B014: D3D8401D 180001A1
	v_mul_f32_e32 v29, v28, v29                                // 00000000B01C: 0A3A3B1C
	v_accvgpr_write_b32 a161, v29                              // 00000000B020: D3D940A1 1800011D
	v_accvgpr_read_b32 v29, a162                               // 00000000B028: D3D8401D 180001A2
	v_mul_f32_e32 v29, v28, v29                                // 00000000B030: 0A3A3B1C
	v_accvgpr_write_b32 a162, v29                              // 00000000B034: D3D940A2 1800011D
	v_accvgpr_read_b32 v29, a163                               // 00000000B03C: D3D8401D 180001A3
	v_mul_f32_e32 v29, v28, v29                                // 00000000B044: 0A3A3B1C
	v_accvgpr_write_b32 a163, v29                              // 00000000B048: D3D940A3 1800011D
	v_accvgpr_read_b32 v29, a164                               // 00000000B050: D3D8401D 180001A4
	v_mul_f32_e32 v29, v28, v29                                // 00000000B058: 0A3A3B1C
	v_accvgpr_write_b32 a164, v29                              // 00000000B05C: D3D940A4 1800011D
	v_accvgpr_read_b32 v29, a165                               // 00000000B064: D3D8401D 180001A5
	v_mul_f32_e32 v29, v28, v29                                // 00000000B06C: 0A3A3B1C
	v_accvgpr_write_b32 a165, v29                              // 00000000B070: D3D940A5 1800011D
	v_accvgpr_read_b32 v29, a166                               // 00000000B078: D3D8401D 180001A6
	v_mul_f32_e32 v29, v28, v29                                // 00000000B080: 0A3A3B1C
	v_accvgpr_write_b32 a166, v29                              // 00000000B084: D3D940A6 1800011D
	v_accvgpr_read_b32 v29, a167                               // 00000000B08C: D3D8401D 180001A7
	v_mul_f32_e32 v29, v28, v29                                // 00000000B094: 0A3A3B1C
	v_accvgpr_write_b32 a167, v29                              // 00000000B098: D3D940A7 1800011D
	v_accvgpr_read_b32 v29, a168                               // 00000000B0A0: D3D8401D 180001A8
	v_mul_f32_e32 v29, v28, v29                                // 00000000B0A8: 0A3A3B1C
	v_accvgpr_write_b32 a168, v29                              // 00000000B0AC: D3D940A8 1800011D
	v_accvgpr_read_b32 v29, a169                               // 00000000B0B4: D3D8401D 180001A9
	v_mul_f32_e32 v29, v28, v29                                // 00000000B0BC: 0A3A3B1C
	v_accvgpr_write_b32 a169, v29                              // 00000000B0C0: D3D940A9 1800011D
	v_accvgpr_read_b32 v29, a170                               // 00000000B0C8: D3D8401D 180001AA
	v_mul_f32_e32 v29, v28, v29                                // 00000000B0D0: 0A3A3B1C
	v_accvgpr_write_b32 a170, v29                              // 00000000B0D4: D3D940AA 1800011D
	v_accvgpr_read_b32 v29, a171                               // 00000000B0DC: D3D8401D 180001AB
	v_mul_f32_e32 v29, v28, v29                                // 00000000B0E4: 0A3A3B1C
	v_accvgpr_write_b32 a171, v29                              // 00000000B0E8: D3D940AB 1800011D
	v_accvgpr_read_b32 v29, a172                               // 00000000B0F0: D3D8401D 180001AC
	v_mul_f32_e32 v29, v28, v29                                // 00000000B0F8: 0A3A3B1C
	v_accvgpr_write_b32 a172, v29                              // 00000000B0FC: D3D940AC 1800011D
	v_accvgpr_read_b32 v29, a173                               // 00000000B104: D3D8401D 180001AD
	v_mul_f32_e32 v29, v28, v29                                // 00000000B10C: 0A3A3B1C
	v_accvgpr_write_b32 a173, v29                              // 00000000B110: D3D940AD 1800011D
	v_accvgpr_read_b32 v29, a174                               // 00000000B118: D3D8401D 180001AE
	v_mul_f32_e32 v29, v28, v29                                // 00000000B120: 0A3A3B1C
	v_accvgpr_write_b32 a174, v29                              // 00000000B124: D3D940AE 1800011D
	v_accvgpr_read_b32 v29, a175                               // 00000000B12C: D3D8401D 180001AF
	v_mul_f32_e32 v29, v28, v29                                // 00000000B134: 0A3A3B1C
	v_accvgpr_write_b32 a175, v29                              // 00000000B138: D3D940AF 1800011D
	v_accvgpr_read_b32 v29, a176                               // 00000000B140: D3D8401D 180001B0
	v_mul_f32_e32 v29, v28, v29                                // 00000000B148: 0A3A3B1C
	v_accvgpr_write_b32 a176, v29                              // 00000000B14C: D3D940B0 1800011D
	v_accvgpr_read_b32 v29, a177                               // 00000000B154: D3D8401D 180001B1
	v_mul_f32_e32 v29, v28, v29                                // 00000000B15C: 0A3A3B1C
	v_accvgpr_write_b32 a177, v29                              // 00000000B160: D3D940B1 1800011D
	v_accvgpr_read_b32 v29, a178                               // 00000000B168: D3D8401D 180001B2
	v_mul_f32_e32 v29, v28, v29                                // 00000000B170: 0A3A3B1C
	v_accvgpr_write_b32 a178, v29                              // 00000000B174: D3D940B2 1800011D
	v_accvgpr_read_b32 v29, a179                               // 00000000B17C: D3D8401D 180001B3
	v_mul_f32_e32 v29, v28, v29                                // 00000000B184: 0A3A3B1C
	v_accvgpr_write_b32 a179, v29                              // 00000000B188: D3D940B3 1800011D
	v_accvgpr_read_b32 v29, a180                               // 00000000B190: D3D8401D 180001B4
	v_mul_f32_e32 v29, v28, v29                                // 00000000B198: 0A3A3B1C
	v_accvgpr_write_b32 a180, v29                              // 00000000B19C: D3D940B4 1800011D
	v_accvgpr_read_b32 v29, a181                               // 00000000B1A4: D3D8401D 180001B5
	v_mul_f32_e32 v29, v28, v29                                // 00000000B1AC: 0A3A3B1C
	v_accvgpr_write_b32 a181, v29                              // 00000000B1B0: D3D940B5 1800011D
	v_accvgpr_read_b32 v29, a182                               // 00000000B1B8: D3D8401D 180001B6
	v_mul_f32_e32 v29, v28, v29                                // 00000000B1C0: 0A3A3B1C
	v_accvgpr_write_b32 a182, v29                              // 00000000B1C4: D3D940B6 1800011D
	v_accvgpr_read_b32 v29, a183                               // 00000000B1CC: D3D8401D 180001B7
	v_mul_f32_e32 v29, v28, v29                                // 00000000B1D4: 0A3A3B1C
	v_accvgpr_write_b32 a183, v29                              // 00000000B1D8: D3D940B7 1800011D
	v_accvgpr_read_b32 v29, a184                               // 00000000B1E0: D3D8401D 180001B8
	v_mul_f32_e32 v29, v28, v29                                // 00000000B1E8: 0A3A3B1C
	v_accvgpr_write_b32 a184, v29                              // 00000000B1EC: D3D940B8 1800011D
	v_accvgpr_read_b32 v29, a185                               // 00000000B1F4: D3D8401D 180001B9
	v_mul_f32_e32 v29, v28, v29                                // 00000000B1FC: 0A3A3B1C
	v_accvgpr_write_b32 a185, v29                              // 00000000B200: D3D940B9 1800011D
	v_accvgpr_read_b32 v29, a186                               // 00000000B208: D3D8401D 180001BA
	v_mul_f32_e32 v29, v28, v29                                // 00000000B210: 0A3A3B1C
	v_accvgpr_write_b32 a186, v29                              // 00000000B214: D3D940BA 1800011D
	v_accvgpr_read_b32 v29, a187                               // 00000000B21C: D3D8401D 180001BB
	v_mul_f32_e32 v29, v28, v29                                // 00000000B224: 0A3A3B1C
	v_accvgpr_write_b32 a187, v29                              // 00000000B228: D3D940BB 1800011D
	v_accvgpr_read_b32 v29, a188                               // 00000000B230: D3D8401D 180001BC
	v_mul_f32_e32 v29, v28, v29                                // 00000000B238: 0A3A3B1C
	v_accvgpr_write_b32 a188, v29                              // 00000000B23C: D3D940BC 1800011D
	v_accvgpr_read_b32 v29, a189                               // 00000000B244: D3D8401D 180001BD
	v_mul_f32_e32 v29, v28, v29                                // 00000000B24C: 0A3A3B1C
	v_accvgpr_write_b32 a189, v29                              // 00000000B250: D3D940BD 1800011D
	v_accvgpr_read_b32 v29, a190                               // 00000000B258: D3D8401D 180001BE
	v_mul_f32_e32 v29, v28, v29                                // 00000000B260: 0A3A3B1C
	v_accvgpr_write_b32 a190, v29                              // 00000000B264: D3D940BE 1800011D
	v_accvgpr_read_b32 v29, a191                               // 00000000B26C: D3D8401D 180001BF
	v_mul_f32_e32 v29, v28, v29                                // 00000000B274: 0A3A3B1C
	v_accvgpr_write_b32 a191, v29                              // 00000000B278: D3D940BF 1800011D
	v_accvgpr_read_b32 v29, a192                               // 00000000B280: D3D8401D 180001C0
	v_mul_f32_e32 v29, v28, v29                                // 00000000B288: 0A3A3B1C
	v_accvgpr_write_b32 a192, v29                              // 00000000B28C: D3D940C0 1800011D
	v_accvgpr_read_b32 v29, a193                               // 00000000B294: D3D8401D 180001C1
	v_mul_f32_e32 v29, v28, v29                                // 00000000B29C: 0A3A3B1C
	v_accvgpr_write_b32 a193, v29                              // 00000000B2A0: D3D940C1 1800011D
	v_accvgpr_read_b32 v29, a194                               // 00000000B2A8: D3D8401D 180001C2
	v_mul_f32_e32 v29, v28, v29                                // 00000000B2B0: 0A3A3B1C
	v_accvgpr_write_b32 a194, v29                              // 00000000B2B4: D3D940C2 1800011D
	v_accvgpr_read_b32 v29, a195                               // 00000000B2BC: D3D8401D 180001C3
	v_mul_f32_e32 v29, v28, v29                                // 00000000B2C4: 0A3A3B1C
	v_accvgpr_write_b32 a195, v29                              // 00000000B2C8: D3D940C3 1800011D
	v_accvgpr_read_b32 v29, a196                               // 00000000B2D0: D3D8401D 180001C4
	v_mul_f32_e32 v29, v28, v29                                // 00000000B2D8: 0A3A3B1C
	v_accvgpr_write_b32 a196, v29                              // 00000000B2DC: D3D940C4 1800011D
	v_accvgpr_read_b32 v29, a197                               // 00000000B2E4: D3D8401D 180001C5
	v_mul_f32_e32 v29, v28, v29                                // 00000000B2EC: 0A3A3B1C
	v_accvgpr_write_b32 a197, v29                              // 00000000B2F0: D3D940C5 1800011D
	v_accvgpr_read_b32 v29, a198                               // 00000000B2F8: D3D8401D 180001C6
	v_mul_f32_e32 v29, v28, v29                                // 00000000B300: 0A3A3B1C
	v_accvgpr_write_b32 a198, v29                              // 00000000B304: D3D940C6 1800011D
	v_accvgpr_read_b32 v29, a199                               // 00000000B30C: D3D8401D 180001C7
	v_mul_f32_e32 v29, v28, v29                                // 00000000B314: 0A3A3B1C
	v_accvgpr_write_b32 a199, v29                              // 00000000B318: D3D940C7 1800011D
	v_accvgpr_read_b32 v29, a200                               // 00000000B320: D3D8401D 180001C8
	v_mul_f32_e32 v29, v28, v29                                // 00000000B328: 0A3A3B1C
	v_accvgpr_write_b32 a200, v29                              // 00000000B32C: D3D940C8 1800011D
	v_accvgpr_read_b32 v29, a201                               // 00000000B334: D3D8401D 180001C9
	v_mul_f32_e32 v29, v28, v29                                // 00000000B33C: 0A3A3B1C
	v_accvgpr_write_b32 a201, v29                              // 00000000B340: D3D940C9 1800011D
	v_accvgpr_read_b32 v29, a202                               // 00000000B348: D3D8401D 180001CA
	v_mul_f32_e32 v29, v28, v29                                // 00000000B350: 0A3A3B1C
	v_accvgpr_write_b32 a202, v29                              // 00000000B354: D3D940CA 1800011D
	v_accvgpr_read_b32 v29, a203                               // 00000000B35C: D3D8401D 180001CB
	v_mul_f32_e32 v29, v28, v29                                // 00000000B364: 0A3A3B1C
	v_accvgpr_write_b32 a203, v29                              // 00000000B368: D3D940CB 1800011D
	v_accvgpr_read_b32 v29, a204                               // 00000000B370: D3D8401D 180001CC
	v_mul_f32_e32 v29, v28, v29                                // 00000000B378: 0A3A3B1C
	v_accvgpr_write_b32 a204, v29                              // 00000000B37C: D3D940CC 1800011D
	v_accvgpr_read_b32 v29, a205                               // 00000000B384: D3D8401D 180001CD
	v_mul_f32_e32 v29, v28, v29                                // 00000000B38C: 0A3A3B1C
	v_accvgpr_write_b32 a205, v29                              // 00000000B390: D3D940CD 1800011D
	v_accvgpr_read_b32 v29, a206                               // 00000000B398: D3D8401D 180001CE
	v_mul_f32_e32 v29, v28, v29                                // 00000000B3A0: 0A3A3B1C
	v_accvgpr_write_b32 a206, v29                              // 00000000B3A4: D3D940CE 1800011D
	v_accvgpr_read_b32 v29, a207                               // 00000000B3AC: D3D8401D 180001CF
	v_mul_f32_e32 v29, v28, v29                                // 00000000B3B4: 0A3A3B1C
	v_accvgpr_write_b32 a207, v29                              // 00000000B3B8: D3D940CF 1800011D
	v_accvgpr_read_b32 v29, a208                               // 00000000B3C0: D3D8401D 180001D0
	v_mul_f32_e32 v29, v28, v29                                // 00000000B3C8: 0A3A3B1C
	v_accvgpr_write_b32 a208, v29                              // 00000000B3CC: D3D940D0 1800011D
	v_accvgpr_read_b32 v29, a209                               // 00000000B3D4: D3D8401D 180001D1
	v_mul_f32_e32 v29, v28, v29                                // 00000000B3DC: 0A3A3B1C
	v_accvgpr_write_b32 a209, v29                              // 00000000B3E0: D3D940D1 1800011D
	v_accvgpr_read_b32 v29, a210                               // 00000000B3E8: D3D8401D 180001D2
	v_mul_f32_e32 v29, v28, v29                                // 00000000B3F0: 0A3A3B1C
	v_accvgpr_write_b32 a210, v29                              // 00000000B3F4: D3D940D2 1800011D
	v_accvgpr_read_b32 v29, a211                               // 00000000B3FC: D3D8401D 180001D3
	v_mul_f32_e32 v29, v28, v29                                // 00000000B404: 0A3A3B1C
	v_accvgpr_write_b32 a211, v29                              // 00000000B408: D3D940D3 1800011D
	v_accvgpr_read_b32 v29, a212                               // 00000000B410: D3D8401D 180001D4
	v_mul_f32_e32 v29, v28, v29                                // 00000000B418: 0A3A3B1C
	v_accvgpr_write_b32 a212, v29                              // 00000000B41C: D3D940D4 1800011D
	v_accvgpr_read_b32 v29, a213                               // 00000000B424: D3D8401D 180001D5
	v_mul_f32_e32 v29, v28, v29                                // 00000000B42C: 0A3A3B1C
	v_accvgpr_write_b32 a213, v29                              // 00000000B430: D3D940D5 1800011D
	v_accvgpr_read_b32 v29, a214                               // 00000000B438: D3D8401D 180001D6
	v_mul_f32_e32 v29, v28, v29                                // 00000000B440: 0A3A3B1C
	v_accvgpr_write_b32 a214, v29                              // 00000000B444: D3D940D6 1800011D
	v_accvgpr_read_b32 v29, a215                               // 00000000B44C: D3D8401D 180001D7
	v_mul_f32_e32 v29, v28, v29                                // 00000000B454: 0A3A3B1C
	v_accvgpr_write_b32 a215, v29                              // 00000000B458: D3D940D7 1800011D
	v_accvgpr_read_b32 v29, a216                               // 00000000B460: D3D8401D 180001D8
	v_mul_f32_e32 v29, v28, v29                                // 00000000B468: 0A3A3B1C
	v_accvgpr_write_b32 a216, v29                              // 00000000B46C: D3D940D8 1800011D
	v_accvgpr_read_b32 v29, a217                               // 00000000B474: D3D8401D 180001D9
	v_mul_f32_e32 v29, v28, v29                                // 00000000B47C: 0A3A3B1C
	v_accvgpr_write_b32 a217, v29                              // 00000000B480: D3D940D9 1800011D
	v_accvgpr_read_b32 v29, a218                               // 00000000B488: D3D8401D 180001DA
	v_mul_f32_e32 v29, v28, v29                                // 00000000B490: 0A3A3B1C
	v_accvgpr_write_b32 a218, v29                              // 00000000B494: D3D940DA 1800011D
	v_accvgpr_read_b32 v29, a219                               // 00000000B49C: D3D8401D 180001DB
	v_mul_f32_e32 v29, v28, v29                                // 00000000B4A4: 0A3A3B1C
	v_accvgpr_write_b32 a219, v29                              // 00000000B4A8: D3D940DB 1800011D
	v_accvgpr_read_b32 v29, a220                               // 00000000B4B0: D3D8401D 180001DC
	v_mul_f32_e32 v29, v28, v29                                // 00000000B4B8: 0A3A3B1C
	v_accvgpr_write_b32 a220, v29                              // 00000000B4BC: D3D940DC 1800011D
	v_accvgpr_read_b32 v29, a221                               // 00000000B4C4: D3D8401D 180001DD
	v_mul_f32_e32 v29, v28, v29                                // 00000000B4CC: 0A3A3B1C
	v_accvgpr_write_b32 a221, v29                              // 00000000B4D0: D3D940DD 1800011D
	v_accvgpr_read_b32 v29, a222                               // 00000000B4D8: D3D8401D 180001DE
	v_mul_f32_e32 v29, v28, v29                                // 00000000B4E0: 0A3A3B1C
	v_accvgpr_write_b32 a222, v29                              // 00000000B4E4: D3D940DE 1800011D
	v_accvgpr_read_b32 v29, a223                               // 00000000B4EC: D3D8401D 180001DF
	v_mul_f32_e32 v29, v28, v29                                // 00000000B4F4: 0A3A3B1C
	v_accvgpr_write_b32 a223, v29                              // 00000000B4F8: D3D940DF 1800011D
	v_accvgpr_read_b32 v29, a224                               // 00000000B500: D3D8401D 180001E0
	v_mul_f32_e32 v29, v28, v29                                // 00000000B508: 0A3A3B1C
	v_accvgpr_write_b32 a224, v29                              // 00000000B50C: D3D940E0 1800011D
	v_accvgpr_read_b32 v29, a225                               // 00000000B514: D3D8401D 180001E1
	v_mul_f32_e32 v29, v28, v29                                // 00000000B51C: 0A3A3B1C
	v_accvgpr_write_b32 a225, v29                              // 00000000B520: D3D940E1 1800011D
	v_accvgpr_read_b32 v29, a226                               // 00000000B528: D3D8401D 180001E2
	v_mul_f32_e32 v29, v28, v29                                // 00000000B530: 0A3A3B1C
	v_accvgpr_write_b32 a226, v29                              // 00000000B534: D3D940E2 1800011D
	v_accvgpr_read_b32 v29, a227                               // 00000000B53C: D3D8401D 180001E3
	v_mul_f32_e32 v29, v28, v29                                // 00000000B544: 0A3A3B1C
	v_accvgpr_write_b32 a227, v29                              // 00000000B548: D3D940E3 1800011D
	v_accvgpr_read_b32 v29, a228                               // 00000000B550: D3D8401D 180001E4
	v_mul_f32_e32 v29, v28, v29                                // 00000000B558: 0A3A3B1C
	v_accvgpr_write_b32 a228, v29                              // 00000000B55C: D3D940E4 1800011D
	v_accvgpr_read_b32 v29, a229                               // 00000000B564: D3D8401D 180001E5
	v_mul_f32_e32 v29, v28, v29                                // 00000000B56C: 0A3A3B1C
	v_accvgpr_write_b32 a229, v29                              // 00000000B570: D3D940E5 1800011D
	v_accvgpr_read_b32 v29, a230                               // 00000000B578: D3D8401D 180001E6
	v_mul_f32_e32 v29, v28, v29                                // 00000000B580: 0A3A3B1C
	v_accvgpr_write_b32 a230, v29                              // 00000000B584: D3D940E6 1800011D
	v_accvgpr_read_b32 v29, a231                               // 00000000B58C: D3D8401D 180001E7
	v_mul_f32_e32 v29, v28, v29                                // 00000000B594: 0A3A3B1C
	v_accvgpr_write_b32 a231, v29                              // 00000000B598: D3D940E7 1800011D
	v_accvgpr_read_b32 v29, a232                               // 00000000B5A0: D3D8401D 180001E8
	v_mul_f32_e32 v29, v28, v29                                // 00000000B5A8: 0A3A3B1C
	v_accvgpr_write_b32 a232, v29                              // 00000000B5AC: D3D940E8 1800011D
	v_accvgpr_read_b32 v29, a233                               // 00000000B5B4: D3D8401D 180001E9
	v_mul_f32_e32 v29, v28, v29                                // 00000000B5BC: 0A3A3B1C
	v_accvgpr_write_b32 a233, v29                              // 00000000B5C0: D3D940E9 1800011D
	v_accvgpr_read_b32 v29, a234                               // 00000000B5C8: D3D8401D 180001EA
	v_mul_f32_e32 v29, v28, v29                                // 00000000B5D0: 0A3A3B1C
	v_accvgpr_write_b32 a234, v29                              // 00000000B5D4: D3D940EA 1800011D
	v_accvgpr_read_b32 v29, a235                               // 00000000B5DC: D3D8401D 180001EB
	v_mul_f32_e32 v29, v28, v29                                // 00000000B5E4: 0A3A3B1C
	v_accvgpr_write_b32 a235, v29                              // 00000000B5E8: D3D940EB 1800011D
	v_accvgpr_read_b32 v29, a236                               // 00000000B5F0: D3D8401D 180001EC
	v_mul_f32_e32 v29, v28, v29                                // 00000000B5F8: 0A3A3B1C
	v_accvgpr_write_b32 a236, v29                              // 00000000B5FC: D3D940EC 1800011D
	v_accvgpr_read_b32 v29, a237                               // 00000000B604: D3D8401D 180001ED
	v_mul_f32_e32 v29, v28, v29                                // 00000000B60C: 0A3A3B1C
	v_accvgpr_write_b32 a237, v29                              // 00000000B610: D3D940ED 1800011D
	v_accvgpr_read_b32 v29, a238                               // 00000000B618: D3D8401D 180001EE
	v_mul_f32_e32 v29, v28, v29                                // 00000000B620: 0A3A3B1C
	v_accvgpr_write_b32 a238, v29                              // 00000000B624: D3D940EE 1800011D
	v_accvgpr_read_b32 v29, a239                               // 00000000B62C: D3D8401D 180001EF
	v_mul_f32_e32 v29, v28, v29                                // 00000000B634: 0A3A3B1C
	v_accvgpr_write_b32 a239, v29                              // 00000000B638: D3D940EF 1800011D
	s_waitcnt lgkmcnt(0)                                       // 00000000B640: BF8CC07F
	v_mfma_f32_32x32x64_f8f6f4 v[64:79], a[72:79], v[32:39], v[64:79]// 00000000B644: D3AE0040 0D024148
	ds_read_b64_tr_b8 a[72:73], v5 offset:4096                 // 00000000B64C: DBC41000 48000005
	ds_read_b64_tr_b8 a[74:75], v6 offset:4096                 // 00000000B654: DBC41000 4A000006
	ds_read_b64_tr_b8 a[76:77], v5 offset:22528                // 00000000B65C: DBC45800 4C000005
	ds_read_b64_tr_b8 a[78:79], v6 offset:22528                // 00000000B664: DBC45800 4E000006
	v_mfma_f32_32x32x64_f8f6f4 v[80:95], a[80:87], v[32:39], v[80:95]// 00000000B66C: D3AE0050 0D424150
	ds_read_b64_tr_b8 a[80:81], v7 offset:4096                 // 00000000B674: DBC41000 50000007
	ds_read_b64_tr_b8 a[82:83], v8 offset:4096                 // 00000000B67C: DBC41000 52000008
	ds_read_b64_tr_b8 a[84:85], v7 offset:22528                // 00000000B684: DBC45800 54000007
	ds_read_b64_tr_b8 a[86:87], v8 offset:22528                // 00000000B68C: DBC45800 56000008
	v_mfma_f32_32x32x64_f8f6f4 v[96:111], a[88:95], v[32:39], v[96:111]// 00000000B694: D3AE0060 0D824158
	ds_read_b64_tr_b8 a[88:89], v5 offset:5120                 // 00000000B69C: DBC41400 58000005
	ds_read_b64_tr_b8 a[90:91], v6 offset:5120                 // 00000000B6A4: DBC41400 5A000006
	ds_read_b64_tr_b8 a[92:93], v5 offset:23552                // 00000000B6AC: DBC45C00 5C000005
	ds_read_b64_tr_b8 a[94:95], v6 offset:23552                // 00000000B6B4: DBC45C00 5E000006
	v_mfma_f32_32x32x64_f8f6f4 v[112:127], a[96:103], v[32:39], v[112:127]// 00000000B6BC: D3AE0070 0DC24160
	ds_read_b64_tr_b8 a[96:97], v7 offset:5120                 // 00000000B6C4: DBC41400 60000007
	ds_read_b64_tr_b8 a[98:99], v8 offset:5120                 // 00000000B6CC: DBC41400 62000008
	ds_read_b64_tr_b8 a[100:101], v7 offset:23552              // 00000000B6D4: DBC45C00 64000007
	ds_read_b64_tr_b8 a[102:103], v8 offset:23552              // 00000000B6DC: DBC45C00 66000008
	v_mfma_f32_32x32x64_f8f6f4 v[128:143], a[104:111], v[32:39], v[128:143]// 00000000B6E4: D3AE0080 0E024168
	ds_read_b64_tr_b8 a[104:105], v5 offset:6144               // 00000000B6EC: DBC41800 68000005
	ds_read_b64_tr_b8 a[106:107], v6 offset:6144               // 00000000B6F4: DBC41800 6A000006
	ds_read_b64_tr_b8 a[108:109], v5 offset:24576              // 00000000B6FC: DBC46000 6C000005
	ds_read_b64_tr_b8 a[110:111], v6 offset:24576              // 00000000B704: DBC46000 6E000006
	v_mfma_f32_32x32x64_f8f6f4 v[144:159], a[112:119], v[32:39], v[144:159]// 00000000B70C: D3AE0090 0E424170
	ds_read_b64_tr_b8 a[112:113], v7 offset:6144               // 00000000B714: DBC41800 70000007
	ds_read_b64_tr_b8 a[114:115], v8 offset:6144               // 00000000B71C: DBC41800 72000008
	ds_read_b64_tr_b8 a[116:117], v7 offset:24576              // 00000000B724: DBC46000 74000007
	ds_read_b64_tr_b8 a[118:119], v8 offset:24576              // 00000000B72C: DBC46000 76000008
	v_mfma_f32_32x32x64_f8f6f4 v[160:175], a[120:127], v[32:39], v[160:175]// 00000000B734: D3AE00A0 0E824178
	ds_read_b64_tr_b8 a[120:121], v5 offset:7168               // 00000000B73C: DBC41C00 78000005
	ds_read_b64_tr_b8 a[122:123], v6 offset:7168               // 00000000B744: DBC41C00 7A000006
	ds_read_b64_tr_b8 a[124:125], v5 offset:25600              // 00000000B74C: DBC46400 7C000005
	ds_read_b64_tr_b8 a[126:127], v6 offset:25600              // 00000000B754: DBC46400 7E000006
	v_mfma_f32_32x32x64_f8f6f4 v[176:191], a[128:135], v[32:39], v[176:191]// 00000000B75C: D3AE00B0 0EC24180
	ds_read_b64_tr_b8 a[128:129], v7 offset:7168               // 00000000B764: DBC41C00 80000007
	ds_read_b64_tr_b8 a[130:131], v8 offset:7168               // 00000000B76C: DBC41C00 82000008
	ds_read_b64_tr_b8 a[132:133], v7 offset:25600              // 00000000B774: DBC46400 84000007
	ds_read_b64_tr_b8 a[134:135], v8 offset:25600              // 00000000B77C: DBC46400 86000008
	s_waitcnt lgkmcnt(0)                                       // 00000000B784: BF8CC07F
	v_mfma_f32_32x32x64_f8f6f4 v[192:207], a[72:79], v[32:39], v[192:207]// 00000000B788: D3AE00C0 0F024148
	v_mfma_f32_32x32x64_f8f6f4 v[208:223], a[80:87], v[32:39], v[208:223]// 00000000B790: D3AE00D0 0F424150
	s_waitcnt vmcnt(10)                                        // 00000000B798: BF8C0F7A
	s_barrier                                                  // 00000000B79C: BF8A0000
	ds_read_b128 a[72:75], v20                                 // 00000000B7A0: DBFE0000 48000014
	ds_read_b128 a[76:79], v21                                 // 00000000B7A8: DBFE0000 4C000015
	v_mfma_f32_32x32x64_f8f6f4 a[144:159], a[88:95], v[32:39], a[144:159]// 00000000B7B0: D3AE8090 0E424158
	ds_read_b128 a[80:83], v20 offset:1024                     // 00000000B7B8: DBFE0400 50000014
	ds_read_b128 a[84:87], v21 offset:1024                     // 00000000B7C0: DBFE0400 54000015
	v_mfma_f32_32x32x64_f8f6f4 a[160:175], a[96:103], v[32:39], a[160:175]// 00000000B7C8: D3AE80A0 0E824160
	ds_read_b128 a[88:91], v20 offset:2048                     // 00000000B7D0: DBFE0800 58000014
	ds_read_b128 a[92:95], v21 offset:2048                     // 00000000B7D8: DBFE0800 5C000015
	v_mfma_f32_32x32x64_f8f6f4 a[176:191], a[104:111], v[32:39], a[176:191]// 00000000B7E0: D3AE80B0 0EC24168
	ds_read_b128 a[96:99], v20 offset:3072                     // 00000000B7E8: DBFE0C00 60000014
	ds_read_b128 a[100:103], v21 offset:3072                   // 00000000B7F0: DBFE0C00 64000015
	v_mfma_f32_32x32x64_f8f6f4 a[192:207], a[112:119], v[32:39], a[192:207]// 00000000B7F8: D3AE80C0 0F024170
	ds_read_b128 a[104:107], v20 offset:4096                   // 00000000B800: DBFE1000 68000014
	ds_read_b128 a[108:111], v21 offset:4096                   // 00000000B808: DBFE1000 6C000015
	v_mfma_f32_32x32x64_f8f6f4 a[208:223], a[120:127], v[32:39], a[208:223]// 00000000B810: D3AE80D0 0F424178
	ds_read_b128 a[112:115], v20 offset:5120                   // 00000000B818: DBFE1400 70000014
	ds_read_b128 a[116:119], v21 offset:5120                   // 00000000B820: DBFE1400 74000015
	v_mfma_f32_32x32x64_f8f6f4 a[224:239], a[128:135], v[32:39], a[224:239]// 00000000B828: D3AE80E0 0F824180
	ds_read_b128 a[120:123], v20 offset:6144                   // 00000000B830: DBFE1800 78000014
	ds_read_b128 a[124:127], v21 offset:6144                   // 00000000B838: DBFE1800 7C000015
	ds_read_b128 a[128:131], v20 offset:7168                   // 00000000B840: DBFE1C00 80000014
	ds_read_b128 a[132:135], v21 offset:7168                   // 00000000B848: DBFE1C00 84000015
	ds_read_b128 a[136:139], v20 offset:8192                   // 00000000B850: DBFE2000 88000014
	ds_read_b128 a[140:143], v21 offset:8192                   // 00000000B858: DBFE2000 8C000015
	s_addk_i32 s70, 0x1                                        // 00000000B860: B7460001
	s_cmp_lt_i32 s70, s71                                      // 00000000B864: BF044746
	s_cbranch_scc0 label_52C0                                  // 00000000B868: BF84EF95
	s_branch label_52CC                                        // 00000000B86C: BF82EF97

000000000000b870 <label_9470>:
	s_cmp_eq_i32 s48, 0                                        // 00000000B870: BF008030
	s_cbranch_scc1 label_DE28                                  // 00000000B874: BF8511EA

000000000000b878 <label_9478>:
	s_mov_b32 s37, 3                                           // 00000000B878: BEA50083
	s_mov_b32 s36, s71                                         // 00000000B87C: BEA40047
	v_cvt_f32_u32_e32 v28, s37                                 // 00000000B880: 7E380C25
	s_sub_i32 s56, 0, s37                                      // 00000000B884: 81B82580
	v_rcp_iflag_f32_e32 v28, v28                               // 00000000B888: 7E38471C
	s_nop 0                                                    // 00000000B88C: BF800000
	v_mul_f32_e32 v28, 0x4f7ffffe, v28                         // 00000000B890: 0A3838FF 4F7FFFFE
	v_cvt_u32_f32_e32 v28, v28                                 // 00000000B898: 7E380F1C
	v_mul_lo_u32 v29, s56, v28                                 // 00000000B89C: D285001D 00023838
	v_mul_hi_u32 v29, v28, v29                                 // 00000000B8A4: D286001D 00023B1C
	v_add_u32_e32 v28, v28, v29                                // 00000000B8AC: 68383B1C
	v_mul_hi_u32 v28, s36, v28                                 // 00000000B8B0: D286001C 00023824
	v_mul_lo_u32 v29, v28, s37                                 // 00000000B8B8: D285001D 00004B1C
	v_sub_u32_e32 v31, s36, v29                                // 00000000B8C0: 6A3E3A24
	v_add_u32_e32 v30, 1, v28                                  // 00000000B8C4: 683C3881
	v_cmp_le_u32_e32 vcc, s37, v31                             // 00000000B8C8: 7D963E25
	v_subrev_u32_e32 v29, s37, v31                             // 00000000B8CC: 6C3A3E25
	s_nop 0                                                    // 00000000B8D0: BF800000
	v_cndmask_b32_e32 v28, v28, v30, vcc                       // 00000000B8D4: 00383D1C
	v_cndmask_b32_e32 v31, v31, v29, vcc                       // 00000000B8D8: 003E3B1F
	v_add_u32_e32 v29, 1, v28                                  // 00000000B8DC: 683A3881
	v_cmp_le_u32_e32 vcc, s37, v31                             // 00000000B8E0: 7D963E25
	s_nop 1                                                    // 00000000B8E4: BF800001
	v_cndmask_b32_e32 v31, v28, v29, vcc                       // 00000000B8E8: 003E3B1C
	s_nop 3                                                    // 00000000B8EC: BF800003
	v_readfirstlane_b32 s38, v31                               // 00000000B8F0: 7E4C051F
	s_nop 3                                                    // 00000000B8F4: BF800003
	s_mul_i32 s56, s38, 3                                      // 00000000B8F8: 92388326
	s_sub_u32 s56, s71, s56                                    // 00000000B8FC: 80B83847
	s_cmp_eq_i32 s56, 1                                        // 00000000B900: BF008138
	s_cbranch_scc1 label_C470                                  // 00000000B904: BF850BDA
	s_cmp_eq_i32 s56, 0                                        // 00000000B908: BF008038
	s_cbranch_scc1 label_ACC0                                  // 00000000B90C: BF8505EC
	s_waitcnt lgkmcnt(4)                                       // 00000000B910: BF8CC47F
	v_mfma_f32_32x32x64_f8f6f4 v[32:47], a[72:79], a[0:7], 0   // 00000000B914: D3AE0020 1A020148
	v_mfma_f32_32x32x64_f8f6f4 v[32:47], a[80:87], a[8:15], v[32:47]// 00000000B91C: D3AE0020 1C821150
	v_mfma_f32_32x32x64_f8f6f4 v[32:47], a[88:95], a[16:23], v[32:47]// 00000000B924: D3AE0020 1C822158
	ds_read_b128 a[72:75], v18 offset:18432                    // 00000000B92C: DBFE4800 48000012
	ds_read_b128 a[76:79], v19 offset:18432                    // 00000000B934: DBFE4800 4C000013
	v_mfma_f32_32x32x64_f8f6f4 v[32:47], a[96:103], a[24:31], v[32:47]// 00000000B93C: D3AE0020 1C823160
	ds_read_b128 a[80:83], v18 offset:19456                    // 00000000B944: DBFE4C00 50000012
	ds_read_b128 a[84:87], v19 offset:19456                    // 00000000B94C: DBFE4C00 54000013
	v_mfma_f32_32x32x64_f8f6f4 v[32:47], a[104:111], a[32:39], v[32:47]// 00000000B954: D3AE0020 1C824168
	ds_read_b128 a[88:91], v18 offset:20480                    // 00000000B95C: DBFE5000 58000012
	ds_read_b128 a[92:95], v19 offset:20480                    // 00000000B964: DBFE5000 5C000013
	v_mfma_f32_32x32x64_f8f6f4 v[32:47], a[112:119], a[40:47], v[32:47]// 00000000B96C: D3AE0020 1C825170
	ds_read_b128 a[96:99], v18 offset:21504                    // 00000000B974: DBFE5400 60000012
	ds_read_b128 a[100:103], v19 offset:21504                  // 00000000B97C: DBFE5400 64000013
	v_mfma_f32_32x32x64_f8f6f4 v[32:47], a[120:127], a[48:55], v[32:47]// 00000000B984: D3AE0020 1C826178
	ds_read_b128 a[104:107], v18 offset:22528                  // 00000000B98C: DBFE5800 68000012
	ds_read_b128 a[108:111], v19 offset:22528                  // 00000000B994: DBFE5800 6C000013
	v_mfma_f32_32x32x64_f8f6f4 v[32:47], a[128:135], a[56:63], v[32:47]// 00000000B99C: D3AE0020 1C827180
	ds_read_b128 a[112:115], v18 offset:23552                  // 00000000B9A4: DBFE5C00 70000012
	ds_read_b128 a[116:119], v19 offset:23552                  // 00000000B9AC: DBFE5C00 74000013
	v_mfma_f32_32x32x64_f8f6f4 v[32:47], a[136:143], a[64:71], v[32:47]// 00000000B9B4: D3AE0020 1C828188
	ds_read_b128 a[120:123], v18 offset:24576                  // 00000000B9BC: DBFE6000 78000012
	ds_read_b128 a[124:127], v19 offset:24576                  // 00000000B9C4: DBFE6000 7C000013
	ds_read_b128 a[128:131], v18 offset:25600                  // 00000000B9CC: DBFE6400 80000012
	ds_read_b128 a[132:135], v19 offset:25600                  // 00000000B9D4: DBFE6400 84000013
	ds_read_b128 a[136:139], v18 offset:26624                  // 00000000B9DC: DBFE6800 88000012
	ds_read_b128 a[140:143], v19 offset:26624                  // 00000000B9E4: DBFE6800 8C000013
	s_waitcnt lgkmcnt(4)                                       // 00000000B9EC: BF8CC47F
	v_mfma_f32_32x32x64_f8f6f4 v[48:63], a[72:79], a[0:7], 0   // 00000000B9F0: D3AE0030 1A020148
	v_mfma_f32_32x32x64_f8f6f4 v[48:63], a[80:87], a[8:15], v[48:63]// 00000000B9F8: D3AE0030 1CC21150
	v_mfma_f32_32x32x64_f8f6f4 v[48:63], a[88:95], a[16:23], v[48:63]// 00000000BA00: D3AE0030 1CC22158
	ds_read_b64_tr_b8 a[72:73], v5                             // 00000000BA08: DBC40000 48000005
	ds_read_b64_tr_b8 a[74:75], v6                             // 00000000BA10: DBC40000 4A000006
	ds_read_b64_tr_b8 a[76:77], v5 offset:18432                // 00000000BA18: DBC44800 4C000005
	ds_read_b64_tr_b8 a[78:79], v6 offset:18432                // 00000000BA20: DBC44800 4E000006
	v_mfma_f32_32x32x64_f8f6f4 v[48:63], a[96:103], a[24:31], v[48:63]// 00000000BA28: D3AE0030 1CC23160
	ds_read_b64_tr_b8 a[80:81], v7                             // 00000000BA30: DBC40000 50000007
	ds_read_b64_tr_b8 a[82:83], v8                             // 00000000BA38: DBC40000 52000008
	ds_read_b64_tr_b8 a[84:85], v7 offset:18432                // 00000000BA40: DBC44800 54000007
	ds_read_b64_tr_b8 a[86:87], v8 offset:18432                // 00000000BA48: DBC44800 56000008
	v_mfma_f32_32x32x64_f8f6f4 v[48:63], a[104:111], a[32:39], v[48:63]// 00000000BA50: D3AE0030 1CC24168
	ds_read_b64_tr_b8 a[88:89], v5 offset:1024                 // 00000000BA58: DBC40400 58000005
	ds_read_b64_tr_b8 a[90:91], v6 offset:1024                 // 00000000BA60: DBC40400 5A000006
	ds_read_b64_tr_b8 a[92:93], v5 offset:19456                // 00000000BA68: DBC44C00 5C000005
	ds_read_b64_tr_b8 a[94:95], v6 offset:19456                // 00000000BA70: DBC44C00 5E000006
	v_mfma_f32_32x32x64_f8f6f4 v[48:63], a[112:119], a[40:47], v[48:63]// 00000000BA78: D3AE0030 1CC25170
	ds_read_b64_tr_b8 a[96:97], v7 offset:1024                 // 00000000BA80: DBC40400 60000007
	ds_read_b64_tr_b8 a[98:99], v8 offset:1024                 // 00000000BA88: DBC40400 62000008
	ds_read_b64_tr_b8 a[100:101], v7 offset:19456              // 00000000BA90: DBC44C00 64000007
	ds_read_b64_tr_b8 a[102:103], v8 offset:19456              // 00000000BA98: DBC44C00 66000008
	v_mfma_f32_32x32x64_f8f6f4 v[48:63], a[120:127], a[48:55], v[48:63]// 00000000BAA0: D3AE0030 1CC26178
	ds_read_b64_tr_b8 a[104:105], v5 offset:2048               // 00000000BAA8: DBC40800 68000005
	ds_read_b64_tr_b8 a[106:107], v6 offset:2048               // 00000000BAB0: DBC40800 6A000006
	ds_read_b64_tr_b8 a[108:109], v5 offset:20480              // 00000000BAB8: DBC45000 6C000005
	ds_read_b64_tr_b8 a[110:111], v6 offset:20480              // 00000000BAC0: DBC45000 6E000006
	v_mfma_f32_32x32x64_f8f6f4 v[48:63], a[128:135], a[56:63], v[48:63]// 00000000BAC8: D3AE0030 1CC27180
	ds_read_b64_tr_b8 a[112:113], v7 offset:2048               // 00000000BAD0: DBC40800 70000007
	ds_read_b64_tr_b8 a[114:115], v8 offset:2048               // 00000000BAD8: DBC40800 72000008
	ds_read_b64_tr_b8 a[116:117], v7 offset:20480              // 00000000BAE0: DBC45000 74000007
	ds_read_b64_tr_b8 a[118:119], v8 offset:20480              // 00000000BAE8: DBC45000 76000008
	v_mfma_f32_32x32x64_f8f6f4 v[48:63], a[136:143], a[64:71], v[48:63]// 00000000BAF0: D3AE0030 1CC28188
	ds_read_b64_tr_b8 a[120:121], v5 offset:3072               // 00000000BAF8: DBC40C00 78000005
	ds_read_b64_tr_b8 a[122:123], v6 offset:3072               // 00000000BB00: DBC40C00 7A000006
	ds_read_b64_tr_b8 a[124:125], v5 offset:21504              // 00000000BB08: DBC45400 7C000005
	ds_read_b64_tr_b8 a[126:127], v6 offset:21504              // 00000000BB10: DBC45400 7E000006
	ds_read_b64_tr_b8 a[128:129], v7 offset:3072               // 00000000BB18: DBC40C00 80000007
	ds_read_b64_tr_b8 a[130:131], v8 offset:3072               // 00000000BB20: DBC40C00 82000008
	ds_read_b64_tr_b8 a[132:133], v7 offset:21504              // 00000000BB28: DBC45400 84000007
	ds_read_b64_tr_b8 a[134:135], v8 offset:21504              // 00000000BB30: DBC45400 86000008
	s_nop 8                                                    // 00000000BB38: BF800008
	s_and_b32 s56, s48, 0xff                                   // 00000000BB3C: 8638FF30 000000FF
	v_mov_b32_e32 v29, s56                                     // 00000000BB44: 7E3A0238
	v_lshrrev_b32_e32 v223, 5, v0                              // 00000000BB48: 21BE0085
	v_mul_i32_i24_e32 v223, 4, v223                            // 00000000BB4C: 0DBFBE84
	v_add_u32_e32 v224, 1, v223                                // 00000000BB50: 69C1BE81
	v_add_u32_e32 v225, 2, v223                                // 00000000BB54: 69C3BE82
	v_add_u32_e32 v226, 3, v223                                // 00000000BB58: 69C5BE83
	v_mov_b32_e32 v28, 0xff800000                              // 00000000BB5C: 7E3802FF FF800000
	v_cmp_lt_u32_e64 s[36:37], v223, v29                       // 00000000BB64: D0C90024 00023BDF
	v_add_u32_e32 v223, 8, v223                                // 00000000BB6C: 69BFBE88
	s_nop 0                                                    // 00000000BB70: BF800000
	v_cndmask_b32_e64 v32, v28, v32, s[36:37]                  // 00000000BB74: D1000020 0092411C
	v_cmp_lt_u32_e64 s[36:37], v224, v29                       // 00000000BB7C: D0C90024 00023BE0
	v_add_u32_e32 v224, 8, v224                                // 00000000BB84: 69C1C088
	s_nop 0                                                    // 00000000BB88: BF800000
	v_cndmask_b32_e64 v33, v28, v33, s[36:37]                  // 00000000BB8C: D1000021 0092431C
	v_cmp_lt_u32_e64 s[36:37], v225, v29                       // 00000000BB94: D0C90024 00023BE1
	v_add_u32_e32 v225, 8, v225                                // 00000000BB9C: 69C3C288
	s_nop 0                                                    // 00000000BBA0: BF800000
	v_cndmask_b32_e64 v34, v28, v34, s[36:37]                  // 00000000BBA4: D1000022 0092451C
	v_cmp_lt_u32_e64 s[36:37], v226, v29                       // 00000000BBAC: D0C90024 00023BE2
	v_add_u32_e32 v226, 8, v226                                // 00000000BBB4: 69C5C488
	s_nop 0                                                    // 00000000BBB8: BF800000
	v_cndmask_b32_e64 v35, v28, v35, s[36:37]                  // 00000000BBBC: D1000023 0092471C
	v_cmp_lt_u32_e64 s[36:37], v223, v29                       // 00000000BBC4: D0C90024 00023BDF
	v_add_u32_e32 v223, 8, v223                                // 00000000BBCC: 69BFBE88
	s_nop 0                                                    // 00000000BBD0: BF800000
	v_cndmask_b32_e64 v36, v28, v36, s[36:37]                  // 00000000BBD4: D1000024 0092491C
	v_cmp_lt_u32_e64 s[36:37], v224, v29                       // 00000000BBDC: D0C90024 00023BE0
	v_add_u32_e32 v224, 8, v224                                // 00000000BBE4: 69C1C088
	s_nop 0                                                    // 00000000BBE8: BF800000
	v_cndmask_b32_e64 v37, v28, v37, s[36:37]                  // 00000000BBEC: D1000025 00924B1C
	v_cmp_lt_u32_e64 s[36:37], v225, v29                       // 00000000BBF4: D0C90024 00023BE1
	v_add_u32_e32 v225, 8, v225                                // 00000000BBFC: 69C3C288
	s_nop 0                                                    // 00000000BC00: BF800000
	v_cndmask_b32_e64 v38, v28, v38, s[36:37]                  // 00000000BC04: D1000026 00924D1C
	v_cmp_lt_u32_e64 s[36:37], v226, v29                       // 00000000BC0C: D0C90024 00023BE2
	v_add_u32_e32 v226, 8, v226                                // 00000000BC14: 69C5C488
	s_nop 0                                                    // 00000000BC18: BF800000
	v_cndmask_b32_e64 v39, v28, v39, s[36:37]                  // 00000000BC1C: D1000027 00924F1C
	v_cmp_lt_u32_e64 s[36:37], v223, v29                       // 00000000BC24: D0C90024 00023BDF
	v_add_u32_e32 v223, 8, v223                                // 00000000BC2C: 69BFBE88
	s_nop 0                                                    // 00000000BC30: BF800000
	v_cndmask_b32_e64 v40, v28, v40, s[36:37]                  // 00000000BC34: D1000028 0092511C
	v_cmp_lt_u32_e64 s[36:37], v224, v29                       // 00000000BC3C: D0C90024 00023BE0
	v_add_u32_e32 v224, 8, v224                                // 00000000BC44: 69C1C088
	s_nop 0                                                    // 00000000BC48: BF800000
	v_cndmask_b32_e64 v41, v28, v41, s[36:37]                  // 00000000BC4C: D1000029 0092531C
	v_cmp_lt_u32_e64 s[36:37], v225, v29                       // 00000000BC54: D0C90024 00023BE1
	v_add_u32_e32 v225, 8, v225                                // 00000000BC5C: 69C3C288
	s_nop 0                                                    // 00000000BC60: BF800000
	v_cndmask_b32_e64 v42, v28, v42, s[36:37]                  // 00000000BC64: D100002A 0092551C
	v_cmp_lt_u32_e64 s[36:37], v226, v29                       // 00000000BC6C: D0C90024 00023BE2
	v_add_u32_e32 v226, 8, v226                                // 00000000BC74: 69C5C488
	s_nop 0                                                    // 00000000BC78: BF800000
	v_cndmask_b32_e64 v43, v28, v43, s[36:37]                  // 00000000BC7C: D100002B 0092571C
	v_cmp_lt_u32_e64 s[36:37], v223, v29                       // 00000000BC84: D0C90024 00023BDF
	v_add_u32_e32 v223, 8, v223                                // 00000000BC8C: 69BFBE88
	s_nop 0                                                    // 00000000BC90: BF800000
	v_cndmask_b32_e64 v44, v28, v44, s[36:37]                  // 00000000BC94: D100002C 0092591C
	v_cmp_lt_u32_e64 s[36:37], v224, v29                       // 00000000BC9C: D0C90024 00023BE0
	v_add_u32_e32 v224, 8, v224                                // 00000000BCA4: 69C1C088
	s_nop 0                                                    // 00000000BCA8: BF800000
	v_cndmask_b32_e64 v45, v28, v45, s[36:37]                  // 00000000BCAC: D100002D 00925B1C
	v_cmp_lt_u32_e64 s[36:37], v225, v29                       // 00000000BCB4: D0C90024 00023BE1
	v_add_u32_e32 v225, 8, v225                                // 00000000BCBC: 69C3C288
	s_nop 0                                                    // 00000000BCC0: BF800000
	v_cndmask_b32_e64 v46, v28, v46, s[36:37]                  // 00000000BCC4: D100002E 00925D1C
	v_cmp_lt_u32_e64 s[36:37], v226, v29                       // 00000000BCCC: D0C90024 00023BE2
	v_add_u32_e32 v226, 8, v226                                // 00000000BCD4: 69C5C488
	s_nop 0                                                    // 00000000BCD8: BF800000
	v_cndmask_b32_e64 v47, v28, v47, s[36:37]                  // 00000000BCDC: D100002F 00925F1C
	v_cmp_lt_u32_e64 s[36:37], v223, v29                       // 00000000BCE4: D0C90024 00023BDF
	v_add_u32_e32 v223, 8, v223                                // 00000000BCEC: 69BFBE88
	s_nop 0                                                    // 00000000BCF0: BF800000
	v_cndmask_b32_e64 v48, v28, v48, s[36:37]                  // 00000000BCF4: D1000030 0092611C
	v_cmp_lt_u32_e64 s[36:37], v224, v29                       // 00000000BCFC: D0C90024 00023BE0
	v_add_u32_e32 v224, 8, v224                                // 00000000BD04: 69C1C088
	s_nop 0                                                    // 00000000BD08: BF800000
	v_cndmask_b32_e64 v49, v28, v49, s[36:37]                  // 00000000BD0C: D1000031 0092631C
	v_cmp_lt_u32_e64 s[36:37], v225, v29                       // 00000000BD14: D0C90024 00023BE1
	v_add_u32_e32 v225, 8, v225                                // 00000000BD1C: 69C3C288
	s_nop 0                                                    // 00000000BD20: BF800000
	v_cndmask_b32_e64 v50, v28, v50, s[36:37]                  // 00000000BD24: D1000032 0092651C
	v_cmp_lt_u32_e64 s[36:37], v226, v29                       // 00000000BD2C: D0C90024 00023BE2
	v_add_u32_e32 v226, 8, v226                                // 00000000BD34: 69C5C488
	s_nop 0                                                    // 00000000BD38: BF800000
	v_cndmask_b32_e64 v51, v28, v51, s[36:37]                  // 00000000BD3C: D1000033 0092671C
	v_cmp_lt_u32_e64 s[36:37], v223, v29                       // 00000000BD44: D0C90024 00023BDF
	v_add_u32_e32 v223, 8, v223                                // 00000000BD4C: 69BFBE88
	s_nop 0                                                    // 00000000BD50: BF800000
	v_cndmask_b32_e64 v52, v28, v52, s[36:37]                  // 00000000BD54: D1000034 0092691C
	v_cmp_lt_u32_e64 s[36:37], v224, v29                       // 00000000BD5C: D0C90024 00023BE0
	v_add_u32_e32 v224, 8, v224                                // 00000000BD64: 69C1C088
	s_nop 0                                                    // 00000000BD68: BF800000
	v_cndmask_b32_e64 v53, v28, v53, s[36:37]                  // 00000000BD6C: D1000035 00926B1C
	v_cmp_lt_u32_e64 s[36:37], v225, v29                       // 00000000BD74: D0C90024 00023BE1
	v_add_u32_e32 v225, 8, v225                                // 00000000BD7C: 69C3C288
	s_nop 0                                                    // 00000000BD80: BF800000
	v_cndmask_b32_e64 v54, v28, v54, s[36:37]                  // 00000000BD84: D1000036 00926D1C
	v_cmp_lt_u32_e64 s[36:37], v226, v29                       // 00000000BD8C: D0C90024 00023BE2
	v_add_u32_e32 v226, 8, v226                                // 00000000BD94: 69C5C488
	s_nop 0                                                    // 00000000BD98: BF800000
	v_cndmask_b32_e64 v55, v28, v55, s[36:37]                  // 00000000BD9C: D1000037 00926F1C
	v_cmp_lt_u32_e64 s[36:37], v223, v29                       // 00000000BDA4: D0C90024 00023BDF
	v_add_u32_e32 v223, 8, v223                                // 00000000BDAC: 69BFBE88
	s_nop 0                                                    // 00000000BDB0: BF800000
	v_cndmask_b32_e64 v56, v28, v56, s[36:37]                  // 00000000BDB4: D1000038 0092711C
	v_cmp_lt_u32_e64 s[36:37], v224, v29                       // 00000000BDBC: D0C90024 00023BE0
	v_add_u32_e32 v224, 8, v224                                // 00000000BDC4: 69C1C088
	s_nop 0                                                    // 00000000BDC8: BF800000
	v_cndmask_b32_e64 v57, v28, v57, s[36:37]                  // 00000000BDCC: D1000039 0092731C
	v_cmp_lt_u32_e64 s[36:37], v225, v29                       // 00000000BDD4: D0C90024 00023BE1
	v_add_u32_e32 v225, 8, v225                                // 00000000BDDC: 69C3C288
	s_nop 0                                                    // 00000000BDE0: BF800000
	v_cndmask_b32_e64 v58, v28, v58, s[36:37]                  // 00000000BDE4: D100003A 0092751C
	v_cmp_lt_u32_e64 s[36:37], v226, v29                       // 00000000BDEC: D0C90024 00023BE2
	v_add_u32_e32 v226, 8, v226                                // 00000000BDF4: 69C5C488
	s_nop 0                                                    // 00000000BDF8: BF800000
	v_cndmask_b32_e64 v59, v28, v59, s[36:37]                  // 00000000BDFC: D100003B 0092771C
	v_cmp_lt_u32_e64 s[36:37], v223, v29                       // 00000000BE04: D0C90024 00023BDF
	v_add_u32_e32 v223, 8, v223                                // 00000000BE0C: 69BFBE88
	s_nop 0                                                    // 00000000BE10: BF800000
	v_cndmask_b32_e64 v60, v28, v60, s[36:37]                  // 00000000BE14: D100003C 0092791C
	v_cmp_lt_u32_e64 s[36:37], v224, v29                       // 00000000BE1C: D0C90024 00023BE0
	v_add_u32_e32 v224, 8, v224                                // 00000000BE24: 69C1C088
	s_nop 0                                                    // 00000000BE28: BF800000
	v_cndmask_b32_e64 v61, v28, v61, s[36:37]                  // 00000000BE2C: D100003D 00927B1C
	v_cmp_lt_u32_e64 s[36:37], v225, v29                       // 00000000BE34: D0C90024 00023BE1
	v_add_u32_e32 v225, 8, v225                                // 00000000BE3C: 69C3C288
	s_nop 0                                                    // 00000000BE40: BF800000
	v_cndmask_b32_e64 v62, v28, v62, s[36:37]                  // 00000000BE44: D100003E 00927D1C
	v_cmp_lt_u32_e64 s[36:37], v226, v29                       // 00000000BE4C: D0C90024 00023BE2
	v_add_u32_e32 v226, 8, v226                                // 00000000BE54: 69C5C488
	s_nop 0                                                    // 00000000BE58: BF800000
	v_cndmask_b32_e64 v63, v28, v63, s[36:37]                  // 00000000BE5C: D100003F 00927F1C
	s_cmp_le_i32 s83, s82                                      // 00000000BE64: BF055253
	s_cbranch_scc1 label_9DBC                                  // 00000000BE68: BF8500D4
	v_mov_b32_e32 v28, s82                                     // 00000000BE6C: 7E380252
	s_cmp_eq_i32 s81, 1                                        // 00000000BE70: BF008151
	s_cbranch_scc1 label_9A98                                  // 00000000BE74: BF850008
	s_cmp_eq_i32 s81, 2                                        // 00000000BE78: BF008251
	s_cbranch_scc1 label_9A8C                                  // 00000000BE7C: BF850003
	v_add_i32 v28, s7, v28                                     // 00000000BE80: D29C001C 00023807
	s_branch label_9A98                                        // 00000000BE88: BF820003

000000000000be8c <label_9A8C>:
	s_lshr_b32 s56, s7, 1                                      // 00000000BE8C: 8F388107
	v_add_u32_e32 v28, s56, v28                                // 00000000BE90: 68383838
	s_branch label_9A98                                        // 00000000BE94: BF820000

000000000000be98 <label_9A98>:
	s_sub_u32 s56, s83, 63                                     // 00000000BE98: 80B8BF53
	v_lshrrev_b32_e32 v223, 5, v0                              // 00000000BE9C: 21BE0085
	v_mul_i32_i24_e32 v223, 4, v223                            // 00000000BEA0: 0DBFBE84
	v_add_u32_e32 v223, s56, v223                              // 00000000BEA4: 69BFBE38
	v_add_u32_e32 v224, 1, v223                                // 00000000BEA8: 69C1BE81
	v_add_u32_e32 v225, 2, v223                                // 00000000BEAC: 69C3BE82
	v_add_u32_e32 v226, 3, v223                                // 00000000BEB0: 69C5BE83
	v_mov_b32_e32 v31, 0xff800000                              // 00000000BEB4: 7E3E02FF FF800000
	v_cmp_le_i32_e64 s[36:37], v223, v28                       // 00000000BEBC: D0C30024 000239DF
	s_nop 0                                                    // 00000000BEC4: BF800000
	v_cndmask_b32_e64 v32, v31, v32, s[36:37]                  // 00000000BEC8: D1000020 0092411F
	v_add_u32_e32 v223, 8, v223                                // 00000000BED0: 69BFBE88
	v_cmp_le_i32_e64 s[36:37], v224, v28                       // 00000000BED4: D0C30024 000239E0
	s_nop 0                                                    // 00000000BEDC: BF800000
	v_cndmask_b32_e64 v33, v31, v33, s[36:37]                  // 00000000BEE0: D1000021 0092431F
	v_add_u32_e32 v224, 8, v224                                // 00000000BEE8: 69C1C088
	v_cmp_le_i32_e64 s[36:37], v225, v28                       // 00000000BEEC: D0C30024 000239E1
	s_nop 0                                                    // 00000000BEF4: BF800000
	v_cndmask_b32_e64 v34, v31, v34, s[36:37]                  // 00000000BEF8: D1000022 0092451F
	v_add_u32_e32 v225, 8, v225                                // 00000000BF00: 69C3C288
	v_cmp_le_i32_e64 s[36:37], v226, v28                       // 00000000BF04: D0C30024 000239E2
	s_nop 0                                                    // 00000000BF0C: BF800000
	v_cndmask_b32_e64 v35, v31, v35, s[36:37]                  // 00000000BF10: D1000023 0092471F
	v_add_u32_e32 v226, 8, v226                                // 00000000BF18: 69C5C488
	v_cmp_le_i32_e64 s[36:37], v223, v28                       // 00000000BF1C: D0C30024 000239DF
	s_nop 0                                                    // 00000000BF24: BF800000
	v_cndmask_b32_e64 v36, v31, v36, s[36:37]                  // 00000000BF28: D1000024 0092491F
	v_add_u32_e32 v223, 8, v223                                // 00000000BF30: 69BFBE88
	v_cmp_le_i32_e64 s[36:37], v224, v28                       // 00000000BF34: D0C30024 000239E0
	s_nop 0                                                    // 00000000BF3C: BF800000
	v_cndmask_b32_e64 v37, v31, v37, s[36:37]                  // 00000000BF40: D1000025 00924B1F
	v_add_u32_e32 v224, 8, v224                                // 00000000BF48: 69C1C088
	v_cmp_le_i32_e64 s[36:37], v225, v28                       // 00000000BF4C: D0C30024 000239E1
	s_nop 0                                                    // 00000000BF54: BF800000
	v_cndmask_b32_e64 v38, v31, v38, s[36:37]                  // 00000000BF58: D1000026 00924D1F
	v_add_u32_e32 v225, 8, v225                                // 00000000BF60: 69C3C288
	v_cmp_le_i32_e64 s[36:37], v226, v28                       // 00000000BF64: D0C30024 000239E2
	s_nop 0                                                    // 00000000BF6C: BF800000
	v_cndmask_b32_e64 v39, v31, v39, s[36:37]                  // 00000000BF70: D1000027 00924F1F
	v_add_u32_e32 v226, 8, v226                                // 00000000BF78: 69C5C488
	v_cmp_le_i32_e64 s[36:37], v223, v28                       // 00000000BF7C: D0C30024 000239DF
	s_nop 0                                                    // 00000000BF84: BF800000
	v_cndmask_b32_e64 v40, v31, v40, s[36:37]                  // 00000000BF88: D1000028 0092511F
	v_add_u32_e32 v223, 8, v223                                // 00000000BF90: 69BFBE88
	v_cmp_le_i32_e64 s[36:37], v224, v28                       // 00000000BF94: D0C30024 000239E0
	s_nop 0                                                    // 00000000BF9C: BF800000
	v_cndmask_b32_e64 v41, v31, v41, s[36:37]                  // 00000000BFA0: D1000029 0092531F
	v_add_u32_e32 v224, 8, v224                                // 00000000BFA8: 69C1C088
	v_cmp_le_i32_e64 s[36:37], v225, v28                       // 00000000BFAC: D0C30024 000239E1
	s_nop 0                                                    // 00000000BFB4: BF800000
	v_cndmask_b32_e64 v42, v31, v42, s[36:37]                  // 00000000BFB8: D100002A 0092551F
	v_add_u32_e32 v225, 8, v225                                // 00000000BFC0: 69C3C288
	v_cmp_le_i32_e64 s[36:37], v226, v28                       // 00000000BFC4: D0C30024 000239E2
	s_nop 0                                                    // 00000000BFCC: BF800000
	v_cndmask_b32_e64 v43, v31, v43, s[36:37]                  // 00000000BFD0: D100002B 0092571F
	v_add_u32_e32 v226, 8, v226                                // 00000000BFD8: 69C5C488
	v_cmp_le_i32_e64 s[36:37], v223, v28                       // 00000000BFDC: D0C30024 000239DF
	s_nop 0                                                    // 00000000BFE4: BF800000
	v_cndmask_b32_e64 v44, v31, v44, s[36:37]                  // 00000000BFE8: D100002C 0092591F
	v_add_u32_e32 v223, 8, v223                                // 00000000BFF0: 69BFBE88
	v_cmp_le_i32_e64 s[36:37], v224, v28                       // 00000000BFF4: D0C30024 000239E0
	s_nop 0                                                    // 00000000BFFC: BF800000
	v_cndmask_b32_e64 v45, v31, v45, s[36:37]                  // 00000000C000: D100002D 00925B1F
	v_add_u32_e32 v224, 8, v224                                // 00000000C008: 69C1C088
	v_cmp_le_i32_e64 s[36:37], v225, v28                       // 00000000C00C: D0C30024 000239E1
	s_nop 0                                                    // 00000000C014: BF800000
	v_cndmask_b32_e64 v46, v31, v46, s[36:37]                  // 00000000C018: D100002E 00925D1F
	v_add_u32_e32 v225, 8, v225                                // 00000000C020: 69C3C288
	v_cmp_le_i32_e64 s[36:37], v226, v28                       // 00000000C024: D0C30024 000239E2
	s_nop 0                                                    // 00000000C02C: BF800000
	v_cndmask_b32_e64 v47, v31, v47, s[36:37]                  // 00000000C030: D100002F 00925F1F
	v_add_u32_e32 v226, 8, v226                                // 00000000C038: 69C5C488
	v_cmp_le_i32_e64 s[36:37], v223, v28                       // 00000000C03C: D0C30024 000239DF
	s_nop 0                                                    // 00000000C044: BF800000
	v_cndmask_b32_e64 v48, v31, v48, s[36:37]                  // 00000000C048: D1000030 0092611F
	v_add_u32_e32 v223, 8, v223                                // 00000000C050: 69BFBE88
	v_cmp_le_i32_e64 s[36:37], v224, v28                       // 00000000C054: D0C30024 000239E0
	s_nop 0                                                    // 00000000C05C: BF800000
	v_cndmask_b32_e64 v49, v31, v49, s[36:37]                  // 00000000C060: D1000031 0092631F
	v_add_u32_e32 v224, 8, v224                                // 00000000C068: 69C1C088
	v_cmp_le_i32_e64 s[36:37], v225, v28                       // 00000000C06C: D0C30024 000239E1
	s_nop 0                                                    // 00000000C074: BF800000
	v_cndmask_b32_e64 v50, v31, v50, s[36:37]                  // 00000000C078: D1000032 0092651F
	v_add_u32_e32 v225, 8, v225                                // 00000000C080: 69C3C288
	v_cmp_le_i32_e64 s[36:37], v226, v28                       // 00000000C084: D0C30024 000239E2
	s_nop 0                                                    // 00000000C08C: BF800000
	v_cndmask_b32_e64 v51, v31, v51, s[36:37]                  // 00000000C090: D1000033 0092671F
	v_add_u32_e32 v226, 8, v226                                // 00000000C098: 69C5C488
	v_cmp_le_i32_e64 s[36:37], v223, v28                       // 00000000C09C: D0C30024 000239DF
	s_nop 0                                                    // 00000000C0A4: BF800000
	v_cndmask_b32_e64 v52, v31, v52, s[36:37]                  // 00000000C0A8: D1000034 0092691F
	v_add_u32_e32 v223, 8, v223                                // 00000000C0B0: 69BFBE88
	v_cmp_le_i32_e64 s[36:37], v224, v28                       // 00000000C0B4: D0C30024 000239E0
	s_nop 0                                                    // 00000000C0BC: BF800000
	v_cndmask_b32_e64 v53, v31, v53, s[36:37]                  // 00000000C0C0: D1000035 00926B1F
	v_add_u32_e32 v224, 8, v224                                // 00000000C0C8: 69C1C088
	v_cmp_le_i32_e64 s[36:37], v225, v28                       // 00000000C0CC: D0C30024 000239E1
	s_nop 0                                                    // 00000000C0D4: BF800000
	v_cndmask_b32_e64 v54, v31, v54, s[36:37]                  // 00000000C0D8: D1000036 00926D1F
	v_add_u32_e32 v225, 8, v225                                // 00000000C0E0: 69C3C288
	v_cmp_le_i32_e64 s[36:37], v226, v28                       // 00000000C0E4: D0C30024 000239E2
	s_nop 0                                                    // 00000000C0EC: BF800000
	v_cndmask_b32_e64 v55, v31, v55, s[36:37]                  // 00000000C0F0: D1000037 00926F1F
	v_add_u32_e32 v226, 8, v226                                // 00000000C0F8: 69C5C488
	v_cmp_le_i32_e64 s[36:37], v223, v28                       // 00000000C0FC: D0C30024 000239DF
	s_nop 0                                                    // 00000000C104: BF800000
	v_cndmask_b32_e64 v56, v31, v56, s[36:37]                  // 00000000C108: D1000038 0092711F
	v_add_u32_e32 v223, 8, v223                                // 00000000C110: 69BFBE88
	v_cmp_le_i32_e64 s[36:37], v224, v28                       // 00000000C114: D0C30024 000239E0
	s_nop 0                                                    // 00000000C11C: BF800000
	v_cndmask_b32_e64 v57, v31, v57, s[36:37]                  // 00000000C120: D1000039 0092731F
	v_add_u32_e32 v224, 8, v224                                // 00000000C128: 69C1C088
	v_cmp_le_i32_e64 s[36:37], v225, v28                       // 00000000C12C: D0C30024 000239E1
	s_nop 0                                                    // 00000000C134: BF800000
	v_cndmask_b32_e64 v58, v31, v58, s[36:37]                  // 00000000C138: D100003A 0092751F
	v_add_u32_e32 v225, 8, v225                                // 00000000C140: 69C3C288
	v_cmp_le_i32_e64 s[36:37], v226, v28                       // 00000000C144: D0C30024 000239E2
	s_nop 0                                                    // 00000000C14C: BF800000
	v_cndmask_b32_e64 v59, v31, v59, s[36:37]                  // 00000000C150: D100003B 0092771F
	v_add_u32_e32 v226, 8, v226                                // 00000000C158: 69C5C488
	v_cmp_le_i32_e64 s[36:37], v223, v28                       // 00000000C15C: D0C30024 000239DF
	s_nop 0                                                    // 00000000C164: BF800000
	v_cndmask_b32_e64 v60, v31, v60, s[36:37]                  // 00000000C168: D100003C 0092791F
	v_add_u32_e32 v223, 8, v223                                // 00000000C170: 69BFBE88
	v_cmp_le_i32_e64 s[36:37], v224, v28                       // 00000000C174: D0C30024 000239E0
	s_nop 0                                                    // 00000000C17C: BF800000
	v_cndmask_b32_e64 v61, v31, v61, s[36:37]                  // 00000000C180: D100003D 00927B1F
	v_add_u32_e32 v224, 8, v224                                // 00000000C188: 69C1C088
	v_cmp_le_i32_e64 s[36:37], v225, v28                       // 00000000C18C: D0C30024 000239E1
	s_nop 0                                                    // 00000000C194: BF800000
	v_cndmask_b32_e64 v62, v31, v62, s[36:37]                  // 00000000C198: D100003E 00927D1F
	v_add_u32_e32 v225, 8, v225                                // 00000000C1A0: 69C3C288
	v_cmp_le_i32_e64 s[36:37], v226, v28                       // 00000000C1A4: D0C30024 000239E2
	s_nop 0                                                    // 00000000C1AC: BF800000
	v_cndmask_b32_e64 v63, v31, v63, s[36:37]                  // 00000000C1B0: D100003F 00927F1F
	v_add_u32_e32 v226, 8, v226                                // 00000000C1B8: 69C5C488

000000000000c1bc <label_9DBC>:
	s_add_u32 s83, s84, s83                                    // 00000000C1BC: 80535354
	s_nop 2                                                    // 00000000C1C0: BF800002
	v_mov_b32_e32 v29, v32                                     // 00000000C1C4: 7E3A0320
	v_max3_f32 v29, v32, v33, v29                              // 00000000C1C8: D1D3001D 04764320
	v_max3_f32 v29, v34, v35, v29                              // 00000000C1D0: D1D3001D 04764722
	v_max3_f32 v29, v36, v37, v29                              // 00000000C1D8: D1D3001D 04764B24
	v_max3_f32 v29, v38, v39, v29                              // 00000000C1E0: D1D3001D 04764F26
	v_max3_f32 v29, v40, v41, v29                              // 00000000C1E8: D1D3001D 04765328
	v_max3_f32 v29, v42, v43, v29                              // 00000000C1F0: D1D3001D 0476572A
	v_max3_f32 v29, v44, v45, v29                              // 00000000C1F8: D1D3001D 04765B2C
	v_max3_f32 v29, v46, v47, v29                              // 00000000C200: D1D3001D 04765F2E
	v_max3_f32 v29, v48, v49, v29                              // 00000000C208: D1D3001D 04766330
	v_max3_f32 v29, v50, v51, v29                              // 00000000C210: D1D3001D 04766732
	v_max3_f32 v29, v52, v53, v29                              // 00000000C218: D1D3001D 04766B34
	v_max3_f32 v29, v54, v55, v29                              // 00000000C220: D1D3001D 04766F36
	v_max3_f32 v29, v56, v57, v29                              // 00000000C228: D1D3001D 04767338
	v_max3_f32 v29, v58, v59, v29                              // 00000000C230: D1D3001D 0476773A
	v_max3_f32 v29, v60, v61, v29                              // 00000000C238: D1D3001D 04767B3C
	v_max3_f32 v29, v62, v63, v29                              // 00000000C240: D1D3001D 04767F3E
	v_mov_b32_e32 v28, v29                                     // 00000000C248: 7E38031D
	v_mov_b32_e32 v29, v29                                     // 00000000C24C: 7E3A031D
	s_nop 1                                                    // 00000000C250: BF800001
	v_permlane32_swap_b32_e32 v28, v29                         // 00000000C254: 7E38B51D
	v_max3_f32 v29, v28, v29, v29                              // 00000000C258: D1D3001D 04763B1C
	v_mov_b32_e32 v28, 0xff800000                              // 00000000C260: 7E3802FF FF800000
	v_cmp_eq_u32_e64 s[36:37], v28, v2                         // 00000000C268: D0CA0024 0002051C
	v_max_f32_e32 v29, v29, v2                                 // 00000000C270: 163A051D
	v_sub_f32_e32 v17, v2, v29                                 // 00000000C274: 04223B02
	v_cndmask_b32_e64 v17, v17, 0, s[36:37]                    // 00000000C278: D1000011 00910111
	v_mov_b32_e32 v2, v29                                      // 00000000C280: 7E04031D
	v_mul_f32_e32 v29, s5, v29                                 // 00000000C284: 0A3A3A05
	v_mul_f32_e32 v17, s5, v17                                 // 00000000C288: 0A222205
	v_exp_f32_e32 v17, v17                                     // 00000000C28C: 7E224111
	v_fma_f32 v32, v32, s5, -v29                               // 00000000C290: D1CB0020 84740B20
	v_fma_f32 v33, v33, s5, -v29                               // 00000000C298: D1CB0021 84740B21
	v_fma_f32 v34, v34, s5, -v29                               // 00000000C2A0: D1CB0022 84740B22
	v_fma_f32 v35, v35, s5, -v29                               // 00000000C2A8: D1CB0023 84740B23
	v_fma_f32 v36, v36, s5, -v29                               // 00000000C2B0: D1CB0024 84740B24
	v_fma_f32 v37, v37, s5, -v29                               // 00000000C2B8: D1CB0025 84740B25
	v_fma_f32 v38, v38, s5, -v29                               // 00000000C2C0: D1CB0026 84740B26
	v_fma_f32 v39, v39, s5, -v29                               // 00000000C2C8: D1CB0027 84740B27
	v_fma_f32 v40, v40, s5, -v29                               // 00000000C2D0: D1CB0028 84740B28
	v_fma_f32 v41, v41, s5, -v29                               // 00000000C2D8: D1CB0029 84740B29
	v_fma_f32 v42, v42, s5, -v29                               // 00000000C2E0: D1CB002A 84740B2A
	v_fma_f32 v43, v43, s5, -v29                               // 00000000C2E8: D1CB002B 84740B2B
	v_fma_f32 v44, v44, s5, -v29                               // 00000000C2F0: D1CB002C 84740B2C
	v_fma_f32 v45, v45, s5, -v29                               // 00000000C2F8: D1CB002D 84740B2D
	v_fma_f32 v46, v46, s5, -v29                               // 00000000C300: D1CB002E 84740B2E
	v_fma_f32 v47, v47, s5, -v29                               // 00000000C308: D1CB002F 84740B2F
	v_fma_f32 v48, v48, s5, -v29                               // 00000000C310: D1CB0030 84740B30
	v_fma_f32 v49, v49, s5, -v29                               // 00000000C318: D1CB0031 84740B31
	v_fma_f32 v50, v50, s5, -v29                               // 00000000C320: D1CB0032 84740B32
	v_fma_f32 v51, v51, s5, -v29                               // 00000000C328: D1CB0033 84740B33
	v_fma_f32 v52, v52, s5, -v29                               // 00000000C330: D1CB0034 84740B34
	v_fma_f32 v53, v53, s5, -v29                               // 00000000C338: D1CB0035 84740B35
	v_fma_f32 v54, v54, s5, -v29                               // 00000000C340: D1CB0036 84740B36
	v_fma_f32 v55, v55, s5, -v29                               // 00000000C348: D1CB0037 84740B37
	v_fma_f32 v56, v56, s5, -v29                               // 00000000C350: D1CB0038 84740B38
	v_fma_f32 v57, v57, s5, -v29                               // 00000000C358: D1CB0039 84740B39
	v_fma_f32 v58, v58, s5, -v29                               // 00000000C360: D1CB003A 84740B3A
	v_fma_f32 v59, v59, s5, -v29                               // 00000000C368: D1CB003B 84740B3B
	v_fma_f32 v60, v60, s5, -v29                               // 00000000C370: D1CB003C 84740B3C
	v_fma_f32 v61, v61, s5, -v29                               // 00000000C378: D1CB003D 84740B3D
	v_fma_f32 v62, v62, s5, -v29                               // 00000000C380: D1CB003E 84740B3E
	v_fma_f32 v63, v63, s5, -v29                               // 00000000C388: D1CB003F 84740B3F
	v_exp_f32_e32 v32, v32                                     // 00000000C390: 7E404120
	v_exp_f32_e32 v33, v33                                     // 00000000C394: 7E424121
	v_exp_f32_e32 v34, v34                                     // 00000000C398: 7E444122
	v_exp_f32_e32 v35, v35                                     // 00000000C39C: 7E464123
	v_exp_f32_e32 v36, v36                                     // 00000000C3A0: 7E484124
	v_exp_f32_e32 v37, v37                                     // 00000000C3A4: 7E4A4125
	v_exp_f32_e32 v38, v38                                     // 00000000C3A8: 7E4C4126
	v_exp_f32_e32 v39, v39                                     // 00000000C3AC: 7E4E4127
	v_exp_f32_e32 v40, v40                                     // 00000000C3B0: 7E504128
	v_exp_f32_e32 v41, v41                                     // 00000000C3B4: 7E524129
	v_exp_f32_e32 v42, v42                                     // 00000000C3B8: 7E54412A
	v_exp_f32_e32 v43, v43                                     // 00000000C3BC: 7E56412B
	v_exp_f32_e32 v44, v44                                     // 00000000C3C0: 7E58412C
	v_exp_f32_e32 v45, v45                                     // 00000000C3C4: 7E5A412D
	v_exp_f32_e32 v46, v46                                     // 00000000C3C8: 7E5C412E
	v_exp_f32_e32 v47, v47                                     // 00000000C3CC: 7E5E412F
	v_exp_f32_e32 v48, v48                                     // 00000000C3D0: 7E604130
	v_exp_f32_e32 v49, v49                                     // 00000000C3D4: 7E624131
	v_exp_f32_e32 v50, v50                                     // 00000000C3D8: 7E644132
	v_exp_f32_e32 v51, v51                                     // 00000000C3DC: 7E664133
	v_exp_f32_e32 v52, v52                                     // 00000000C3E0: 7E684134
	v_exp_f32_e32 v53, v53                                     // 00000000C3E4: 7E6A4135
	v_exp_f32_e32 v54, v54                                     // 00000000C3E8: 7E6C4136
	v_exp_f32_e32 v55, v55                                     // 00000000C3EC: 7E6E4137
	v_exp_f32_e32 v56, v56                                     // 00000000C3F0: 7E704138
	v_exp_f32_e32 v57, v57                                     // 00000000C3F4: 7E724139
	v_exp_f32_e32 v58, v58                                     // 00000000C3F8: 7E74413A
	v_exp_f32_e32 v59, v59                                     // 00000000C3FC: 7E76413B
	v_exp_f32_e32 v60, v60                                     // 00000000C400: 7E78413C
	v_exp_f32_e32 v61, v61                                     // 00000000C404: 7E7A413D
	v_exp_f32_e32 v62, v62                                     // 00000000C408: 7E7C413E
	v_exp_f32_e32 v63, v63                                     // 00000000C40C: 7E7E413F
	v_mul_f32_e32 v4, v17, v4                                  // 00000000C410: 0A080911
	v_mov_b32_e32 v28, v32                                     // 00000000C414: 7E380320
	v_add_f32_e32 v28, v33, v28                                // 00000000C418: 02383921
	v_add_f32_e32 v28, v34, v28                                // 00000000C41C: 02383922
	v_add_f32_e32 v28, v35, v28                                // 00000000C420: 02383923
	v_add_f32_e32 v28, v36, v28                                // 00000000C424: 02383924
	v_add_f32_e32 v28, v37, v28                                // 00000000C428: 02383925
	v_add_f32_e32 v28, v38, v28                                // 00000000C42C: 02383926
	v_add_f32_e32 v28, v39, v28                                // 00000000C430: 02383927
	v_add_f32_e32 v28, v40, v28                                // 00000000C434: 02383928
	v_add_f32_e32 v28, v41, v28                                // 00000000C438: 02383929
	v_add_f32_e32 v28, v42, v28                                // 00000000C43C: 0238392A
	v_add_f32_e32 v28, v43, v28                                // 00000000C440: 0238392B
	v_add_f32_e32 v28, v44, v28                                // 00000000C444: 0238392C
	v_add_f32_e32 v28, v45, v28                                // 00000000C448: 0238392D
	v_add_f32_e32 v28, v46, v28                                // 00000000C44C: 0238392E
	v_add_f32_e32 v28, v47, v28                                // 00000000C450: 0238392F
	v_add_f32_e32 v28, v48, v28                                // 00000000C454: 02383930
	v_add_f32_e32 v28, v49, v28                                // 00000000C458: 02383931
	v_add_f32_e32 v28, v50, v28                                // 00000000C45C: 02383932
	v_add_f32_e32 v28, v51, v28                                // 00000000C460: 02383933
	v_add_f32_e32 v28, v52, v28                                // 00000000C464: 02383934
	v_add_f32_e32 v28, v53, v28                                // 00000000C468: 02383935
	v_add_f32_e32 v28, v54, v28                                // 00000000C46C: 02383936
	v_add_f32_e32 v28, v55, v28                                // 00000000C470: 02383937
	v_add_f32_e32 v28, v56, v28                                // 00000000C474: 02383938
	v_add_f32_e32 v28, v57, v28                                // 00000000C478: 02383939
	v_add_f32_e32 v28, v58, v28                                // 00000000C47C: 0238393A
	v_add_f32_e32 v28, v59, v28                                // 00000000C480: 0238393B
	v_add_f32_e32 v28, v60, v28                                // 00000000C484: 0238393C
	v_add_f32_e32 v28, v61, v28                                // 00000000C488: 0238393D
	v_add_f32_e32 v28, v62, v28                                // 00000000C48C: 0238393E
	v_add_f32_e32 v28, v63, v28                                // 00000000C490: 0238393F
	v_add_f32_e32 v4, v28, v4                                  // 00000000C494: 0208091C
	v_cvt_pk_fp8_f32 v32, v32, v33                             // 00000000C498: D2A20020 00024320
	v_cvt_pk_fp8_f32 v32, v34, v35 op_sel:[0,0,1]              // 00000000C4A0: D2A24020 00024722
	v_cvt_pk_fp8_f32 v33, v36, v37                             // 00000000C4A8: D2A20021 00024B24
	v_cvt_pk_fp8_f32 v33, v38, v39 op_sel:[0,0,1]              // 00000000C4B0: D2A24021 00024F26
	v_cvt_pk_fp8_f32 v34, v40, v41                             // 00000000C4B8: D2A20022 00025328
	v_cvt_pk_fp8_f32 v34, v42, v43 op_sel:[0,0,1]              // 00000000C4C0: D2A24022 0002572A
	v_cvt_pk_fp8_f32 v35, v44, v45                             // 00000000C4C8: D2A20023 00025B2C
	v_cvt_pk_fp8_f32 v35, v46, v47 op_sel:[0,0,1]              // 00000000C4D0: D2A24023 00025F2E
	v_cvt_pk_fp8_f32 v36, v48, v49                             // 00000000C4D8: D2A20024 00026330
	v_cvt_pk_fp8_f32 v36, v50, v51 op_sel:[0,0,1]              // 00000000C4E0: D2A24024 00026732
	v_cvt_pk_fp8_f32 v37, v52, v53                             // 00000000C4E8: D2A20025 00026B34
	v_cvt_pk_fp8_f32 v37, v54, v55 op_sel:[0,0,1]              // 00000000C4F0: D2A24025 00026F36
	v_cvt_pk_fp8_f32 v38, v56, v57                             // 00000000C4F8: D2A20026 00027338
	v_cvt_pk_fp8_f32 v38, v58, v59 op_sel:[0,0,1]              // 00000000C500: D2A24026 0002773A
	v_cvt_pk_fp8_f32 v39, v60, v61                             // 00000000C508: D2A20027 00027B3C
	v_cvt_pk_fp8_f32 v39, v62, v63 op_sel:[0,0,1]              // 00000000C510: D2A24027 00027F3E
	v_permlane32_swap_b32_e32 v32, v34                         // 00000000C518: 7E40B522
	v_permlane32_swap_b32_e32 v33, v35                         // 00000000C51C: 7E42B523
	v_swap_b32 v33, v34                                        // 00000000C520: 7E42A322
	v_permlane32_swap_b32_e32 v36, v38                         // 00000000C524: 7E48B526
	v_permlane32_swap_b32_e32 v37, v39                         // 00000000C528: 7E4AB527
	v_swap_b32 v37, v38                                        // 00000000C52C: 7E4AA326
	v_mov_b32_e32 v28, v17                                     // 00000000C530: 7E380311
	v_mul_f32_e32 v64, v28, v64                                // 00000000C534: 0A80811C
	v_mul_f32_e32 v65, v28, v65                                // 00000000C538: 0A82831C
	v_mul_f32_e32 v66, v28, v66                                // 00000000C53C: 0A84851C
	v_mul_f32_e32 v67, v28, v67                                // 00000000C540: 0A86871C
	v_mul_f32_e32 v68, v28, v68                                // 00000000C544: 0A88891C
	v_mul_f32_e32 v69, v28, v69                                // 00000000C548: 0A8A8B1C
	v_mul_f32_e32 v70, v28, v70                                // 00000000C54C: 0A8C8D1C
	v_mul_f32_e32 v71, v28, v71                                // 00000000C550: 0A8E8F1C
	v_mul_f32_e32 v72, v28, v72                                // 00000000C554: 0A90911C
	v_mul_f32_e32 v73, v28, v73                                // 00000000C558: 0A92931C
	v_mul_f32_e32 v74, v28, v74                                // 00000000C55C: 0A94951C
	v_mul_f32_e32 v75, v28, v75                                // 00000000C560: 0A96971C
	v_mul_f32_e32 v76, v28, v76                                // 00000000C564: 0A98991C
	v_mul_f32_e32 v77, v28, v77                                // 00000000C568: 0A9A9B1C
	v_mul_f32_e32 v78, v28, v78                                // 00000000C56C: 0A9C9D1C
	v_mul_f32_e32 v79, v28, v79                                // 00000000C570: 0A9E9F1C
	v_mul_f32_e32 v80, v28, v80                                // 00000000C574: 0AA0A11C
	v_mul_f32_e32 v81, v28, v81                                // 00000000C578: 0AA2A31C
	v_mul_f32_e32 v82, v28, v82                                // 00000000C57C: 0AA4A51C
	v_mul_f32_e32 v83, v28, v83                                // 00000000C580: 0AA6A71C
	v_mul_f32_e32 v84, v28, v84                                // 00000000C584: 0AA8A91C
	v_mul_f32_e32 v85, v28, v85                                // 00000000C588: 0AAAAB1C
	v_mul_f32_e32 v86, v28, v86                                // 00000000C58C: 0AACAD1C
	v_mul_f32_e32 v87, v28, v87                                // 00000000C590: 0AAEAF1C
	v_mul_f32_e32 v88, v28, v88                                // 00000000C594: 0AB0B11C
	v_mul_f32_e32 v89, v28, v89                                // 00000000C598: 0AB2B31C
	v_mul_f32_e32 v90, v28, v90                                // 00000000C59C: 0AB4B51C
	v_mul_f32_e32 v91, v28, v91                                // 00000000C5A0: 0AB6B71C
	v_mul_f32_e32 v92, v28, v92                                // 00000000C5A4: 0AB8B91C
	v_mul_f32_e32 v93, v28, v93                                // 00000000C5A8: 0ABABB1C
	v_mul_f32_e32 v94, v28, v94                                // 00000000C5AC: 0ABCBD1C
	v_mul_f32_e32 v95, v28, v95                                // 00000000C5B0: 0ABEBF1C
	v_mul_f32_e32 v96, v28, v96                                // 00000000C5B4: 0AC0C11C
	v_mul_f32_e32 v97, v28, v97                                // 00000000C5B8: 0AC2C31C
	v_mul_f32_e32 v98, v28, v98                                // 00000000C5BC: 0AC4C51C
	v_mul_f32_e32 v99, v28, v99                                // 00000000C5C0: 0AC6C71C
	v_mul_f32_e32 v100, v28, v100                              // 00000000C5C4: 0AC8C91C
	v_mul_f32_e32 v101, v28, v101                              // 00000000C5C8: 0ACACB1C
	v_mul_f32_e32 v102, v28, v102                              // 00000000C5CC: 0ACCCD1C
	v_mul_f32_e32 v103, v28, v103                              // 00000000C5D0: 0ACECF1C
	v_mul_f32_e32 v104, v28, v104                              // 00000000C5D4: 0AD0D11C
	v_mul_f32_e32 v105, v28, v105                              // 00000000C5D8: 0AD2D31C
	v_mul_f32_e32 v106, v28, v106                              // 00000000C5DC: 0AD4D51C
	v_mul_f32_e32 v107, v28, v107                              // 00000000C5E0: 0AD6D71C
	v_mul_f32_e32 v108, v28, v108                              // 00000000C5E4: 0AD8D91C
	v_mul_f32_e32 v109, v28, v109                              // 00000000C5E8: 0ADADB1C
	v_mul_f32_e32 v110, v28, v110                              // 00000000C5EC: 0ADCDD1C
	v_mul_f32_e32 v111, v28, v111                              // 00000000C5F0: 0ADEDF1C
	v_mul_f32_e32 v112, v28, v112                              // 00000000C5F4: 0AE0E11C
	v_mul_f32_e32 v113, v28, v113                              // 00000000C5F8: 0AE2E31C
	v_mul_f32_e32 v114, v28, v114                              // 00000000C5FC: 0AE4E51C
	v_mul_f32_e32 v115, v28, v115                              // 00000000C600: 0AE6E71C
	v_mul_f32_e32 v116, v28, v116                              // 00000000C604: 0AE8E91C
	v_mul_f32_e32 v117, v28, v117                              // 00000000C608: 0AEAEB1C
	v_mul_f32_e32 v118, v28, v118                              // 00000000C60C: 0AECED1C
	v_mul_f32_e32 v119, v28, v119                              // 00000000C610: 0AEEEF1C
	v_mul_f32_e32 v120, v28, v120                              // 00000000C614: 0AF0F11C
	v_mul_f32_e32 v121, v28, v121                              // 00000000C618: 0AF2F31C
	v_mul_f32_e32 v122, v28, v122                              // 00000000C61C: 0AF4F51C
	v_mul_f32_e32 v123, v28, v123                              // 00000000C620: 0AF6F71C
	v_mul_f32_e32 v124, v28, v124                              // 00000000C624: 0AF8F91C
	v_mul_f32_e32 v125, v28, v125                              // 00000000C628: 0AFAFB1C
	v_mul_f32_e32 v126, v28, v126                              // 00000000C62C: 0AFCFD1C
	v_mul_f32_e32 v127, v28, v127                              // 00000000C630: 0AFEFF1C
	v_mul_f32_e32 v128, v28, v128                              // 00000000C634: 0B01011C
	v_mul_f32_e32 v129, v28, v129                              // 00000000C638: 0B03031C
	v_mul_f32_e32 v130, v28, v130                              // 00000000C63C: 0B05051C
	v_mul_f32_e32 v131, v28, v131                              // 00000000C640: 0B07071C
	v_mul_f32_e32 v132, v28, v132                              // 00000000C644: 0B09091C
	v_mul_f32_e32 v133, v28, v133                              // 00000000C648: 0B0B0B1C
	v_mul_f32_e32 v134, v28, v134                              // 00000000C64C: 0B0D0D1C
	v_mul_f32_e32 v135, v28, v135                              // 00000000C650: 0B0F0F1C
	v_mul_f32_e32 v136, v28, v136                              // 00000000C654: 0B11111C
	v_mul_f32_e32 v137, v28, v137                              // 00000000C658: 0B13131C
	v_mul_f32_e32 v138, v28, v138                              // 00000000C65C: 0B15151C
	v_mul_f32_e32 v139, v28, v139                              // 00000000C660: 0B17171C
	v_mul_f32_e32 v140, v28, v140                              // 00000000C664: 0B19191C
	v_mul_f32_e32 v141, v28, v141                              // 00000000C668: 0B1B1B1C
	v_mul_f32_e32 v142, v28, v142                              // 00000000C66C: 0B1D1D1C
	v_mul_f32_e32 v143, v28, v143                              // 00000000C670: 0B1F1F1C
	v_mul_f32_e32 v144, v28, v144                              // 00000000C674: 0B21211C
	v_mul_f32_e32 v145, v28, v145                              // 00000000C678: 0B23231C
	v_mul_f32_e32 v146, v28, v146                              // 00000000C67C: 0B25251C
	v_mul_f32_e32 v147, v28, v147                              // 00000000C680: 0B27271C
	v_mul_f32_e32 v148, v28, v148                              // 00000000C684: 0B29291C
	v_mul_f32_e32 v149, v28, v149                              // 00000000C688: 0B2B2B1C
	v_mul_f32_e32 v150, v28, v150                              // 00000000C68C: 0B2D2D1C
	v_mul_f32_e32 v151, v28, v151                              // 00000000C690: 0B2F2F1C
	v_mul_f32_e32 v152, v28, v152                              // 00000000C694: 0B31311C
	v_mul_f32_e32 v153, v28, v153                              // 00000000C698: 0B33331C
	v_mul_f32_e32 v154, v28, v154                              // 00000000C69C: 0B35351C
	v_mul_f32_e32 v155, v28, v155                              // 00000000C6A0: 0B37371C
	v_mul_f32_e32 v156, v28, v156                              // 00000000C6A4: 0B39391C
	v_mul_f32_e32 v157, v28, v157                              // 00000000C6A8: 0B3B3B1C
	v_mul_f32_e32 v158, v28, v158                              // 00000000C6AC: 0B3D3D1C
	v_mul_f32_e32 v159, v28, v159                              // 00000000C6B0: 0B3F3F1C
	v_mul_f32_e32 v160, v28, v160                              // 00000000C6B4: 0B41411C
	v_mul_f32_e32 v161, v28, v161                              // 00000000C6B8: 0B43431C
	v_mul_f32_e32 v162, v28, v162                              // 00000000C6BC: 0B45451C
	v_mul_f32_e32 v163, v28, v163                              // 00000000C6C0: 0B47471C
	v_mul_f32_e32 v164, v28, v164                              // 00000000C6C4: 0B49491C
	v_mul_f32_e32 v165, v28, v165                              // 00000000C6C8: 0B4B4B1C
	v_mul_f32_e32 v166, v28, v166                              // 00000000C6CC: 0B4D4D1C
	v_mul_f32_e32 v167, v28, v167                              // 00000000C6D0: 0B4F4F1C
	v_mul_f32_e32 v168, v28, v168                              // 00000000C6D4: 0B51511C
	v_mul_f32_e32 v169, v28, v169                              // 00000000C6D8: 0B53531C
	v_mul_f32_e32 v170, v28, v170                              // 00000000C6DC: 0B55551C
	v_mul_f32_e32 v171, v28, v171                              // 00000000C6E0: 0B57571C
	v_mul_f32_e32 v172, v28, v172                              // 00000000C6E4: 0B59591C
	v_mul_f32_e32 v173, v28, v173                              // 00000000C6E8: 0B5B5B1C
	v_mul_f32_e32 v174, v28, v174                              // 00000000C6EC: 0B5D5D1C
	v_mul_f32_e32 v175, v28, v175                              // 00000000C6F0: 0B5F5F1C
	v_mul_f32_e32 v176, v28, v176                              // 00000000C6F4: 0B61611C
	v_mul_f32_e32 v177, v28, v177                              // 00000000C6F8: 0B63631C
	v_mul_f32_e32 v178, v28, v178                              // 00000000C6FC: 0B65651C
	v_mul_f32_e32 v179, v28, v179                              // 00000000C700: 0B67671C
	v_mul_f32_e32 v180, v28, v180                              // 00000000C704: 0B69691C
	v_mul_f32_e32 v181, v28, v181                              // 00000000C708: 0B6B6B1C
	v_mul_f32_e32 v182, v28, v182                              // 00000000C70C: 0B6D6D1C
	v_mul_f32_e32 v183, v28, v183                              // 00000000C710: 0B6F6F1C
	v_mul_f32_e32 v184, v28, v184                              // 00000000C714: 0B71711C
	v_mul_f32_e32 v185, v28, v185                              // 00000000C718: 0B73731C
	v_mul_f32_e32 v186, v28, v186                              // 00000000C71C: 0B75751C
	v_mul_f32_e32 v187, v28, v187                              // 00000000C720: 0B77771C
	v_mul_f32_e32 v188, v28, v188                              // 00000000C724: 0B79791C
	v_mul_f32_e32 v189, v28, v189                              // 00000000C728: 0B7B7B1C
	v_mul_f32_e32 v190, v28, v190                              // 00000000C72C: 0B7D7D1C
	v_mul_f32_e32 v191, v28, v191                              // 00000000C730: 0B7F7F1C
	v_mul_f32_e32 v192, v28, v192                              // 00000000C734: 0B81811C
	v_mul_f32_e32 v193, v28, v193                              // 00000000C738: 0B83831C
	v_mul_f32_e32 v194, v28, v194                              // 00000000C73C: 0B85851C
	v_mul_f32_e32 v195, v28, v195                              // 00000000C740: 0B87871C
	v_mul_f32_e32 v196, v28, v196                              // 00000000C744: 0B89891C
	v_mul_f32_e32 v197, v28, v197                              // 00000000C748: 0B8B8B1C
	v_mul_f32_e32 v198, v28, v198                              // 00000000C74C: 0B8D8D1C
	v_mul_f32_e32 v199, v28, v199                              // 00000000C750: 0B8F8F1C
	v_mul_f32_e32 v200, v28, v200                              // 00000000C754: 0B91911C
	v_mul_f32_e32 v201, v28, v201                              // 00000000C758: 0B93931C
	v_mul_f32_e32 v202, v28, v202                              // 00000000C75C: 0B95951C
	v_mul_f32_e32 v203, v28, v203                              // 00000000C760: 0B97971C
	v_mul_f32_e32 v204, v28, v204                              // 00000000C764: 0B99991C
	v_mul_f32_e32 v205, v28, v205                              // 00000000C768: 0B9B9B1C
	v_mul_f32_e32 v206, v28, v206                              // 00000000C76C: 0B9D9D1C
	v_mul_f32_e32 v207, v28, v207                              // 00000000C770: 0B9F9F1C
	v_mul_f32_e32 v208, v28, v208                              // 00000000C774: 0BA1A11C
	v_mul_f32_e32 v209, v28, v209                              // 00000000C778: 0BA3A31C
	v_mul_f32_e32 v210, v28, v210                              // 00000000C77C: 0BA5A51C
	v_mul_f32_e32 v211, v28, v211                              // 00000000C780: 0BA7A71C
	v_mul_f32_e32 v212, v28, v212                              // 00000000C784: 0BA9A91C
	v_mul_f32_e32 v213, v28, v213                              // 00000000C788: 0BABAB1C
	v_mul_f32_e32 v214, v28, v214                              // 00000000C78C: 0BADAD1C
	v_mul_f32_e32 v215, v28, v215                              // 00000000C790: 0BAFAF1C
	v_mul_f32_e32 v216, v28, v216                              // 00000000C794: 0BB1B11C
	v_mul_f32_e32 v217, v28, v217                              // 00000000C798: 0BB3B31C
	v_mul_f32_e32 v218, v28, v218                              // 00000000C79C: 0BB5B51C
	v_mul_f32_e32 v219, v28, v219                              // 00000000C7A0: 0BB7B71C
	v_mul_f32_e32 v220, v28, v220                              // 00000000C7A4: 0BB9B91C
	v_mul_f32_e32 v221, v28, v221                              // 00000000C7A8: 0BBBBB1C
	v_mul_f32_e32 v222, v28, v222                              // 00000000C7AC: 0BBDBD1C
	v_mul_f32_e32 v223, v28, v223                              // 00000000C7B0: 0BBFBF1C
	v_accvgpr_read_b32 v29, a144                               // 00000000C7B4: D3D8401D 18000190
	v_mul_f32_e32 v29, v28, v29                                // 00000000C7BC: 0A3A3B1C
	v_accvgpr_write_b32 a144, v29                              // 00000000C7C0: D3D94090 1800011D
	v_accvgpr_read_b32 v29, a145                               // 00000000C7C8: D3D8401D 18000191
	v_mul_f32_e32 v29, v28, v29                                // 00000000C7D0: 0A3A3B1C
	v_accvgpr_write_b32 a145, v29                              // 00000000C7D4: D3D94091 1800011D
	v_accvgpr_read_b32 v29, a146                               // 00000000C7DC: D3D8401D 18000192
	v_mul_f32_e32 v29, v28, v29                                // 00000000C7E4: 0A3A3B1C
	v_accvgpr_write_b32 a146, v29                              // 00000000C7E8: D3D94092 1800011D
	v_accvgpr_read_b32 v29, a147                               // 00000000C7F0: D3D8401D 18000193
	v_mul_f32_e32 v29, v28, v29                                // 00000000C7F8: 0A3A3B1C
	v_accvgpr_write_b32 a147, v29                              // 00000000C7FC: D3D94093 1800011D
	v_accvgpr_read_b32 v29, a148                               // 00000000C804: D3D8401D 18000194
	v_mul_f32_e32 v29, v28, v29                                // 00000000C80C: 0A3A3B1C
	v_accvgpr_write_b32 a148, v29                              // 00000000C810: D3D94094 1800011D
	v_accvgpr_read_b32 v29, a149                               // 00000000C818: D3D8401D 18000195
	v_mul_f32_e32 v29, v28, v29                                // 00000000C820: 0A3A3B1C
	v_accvgpr_write_b32 a149, v29                              // 00000000C824: D3D94095 1800011D
	v_accvgpr_read_b32 v29, a150                               // 00000000C82C: D3D8401D 18000196
	v_mul_f32_e32 v29, v28, v29                                // 00000000C834: 0A3A3B1C
	v_accvgpr_write_b32 a150, v29                              // 00000000C838: D3D94096 1800011D
	v_accvgpr_read_b32 v29, a151                               // 00000000C840: D3D8401D 18000197
	v_mul_f32_e32 v29, v28, v29                                // 00000000C848: 0A3A3B1C
	v_accvgpr_write_b32 a151, v29                              // 00000000C84C: D3D94097 1800011D
	v_accvgpr_read_b32 v29, a152                               // 00000000C854: D3D8401D 18000198
	v_mul_f32_e32 v29, v28, v29                                // 00000000C85C: 0A3A3B1C
	v_accvgpr_write_b32 a152, v29                              // 00000000C860: D3D94098 1800011D
	v_accvgpr_read_b32 v29, a153                               // 00000000C868: D3D8401D 18000199
	v_mul_f32_e32 v29, v28, v29                                // 00000000C870: 0A3A3B1C
	v_accvgpr_write_b32 a153, v29                              // 00000000C874: D3D94099 1800011D
	v_accvgpr_read_b32 v29, a154                               // 00000000C87C: D3D8401D 1800019A
	v_mul_f32_e32 v29, v28, v29                                // 00000000C884: 0A3A3B1C
	v_accvgpr_write_b32 a154, v29                              // 00000000C888: D3D9409A 1800011D
	v_accvgpr_read_b32 v29, a155                               // 00000000C890: D3D8401D 1800019B
	v_mul_f32_e32 v29, v28, v29                                // 00000000C898: 0A3A3B1C
	v_accvgpr_write_b32 a155, v29                              // 00000000C89C: D3D9409B 1800011D
	v_accvgpr_read_b32 v29, a156                               // 00000000C8A4: D3D8401D 1800019C
	v_mul_f32_e32 v29, v28, v29                                // 00000000C8AC: 0A3A3B1C
	v_accvgpr_write_b32 a156, v29                              // 00000000C8B0: D3D9409C 1800011D
	v_accvgpr_read_b32 v29, a157                               // 00000000C8B8: D3D8401D 1800019D
	v_mul_f32_e32 v29, v28, v29                                // 00000000C8C0: 0A3A3B1C
	v_accvgpr_write_b32 a157, v29                              // 00000000C8C4: D3D9409D 1800011D
	v_accvgpr_read_b32 v29, a158                               // 00000000C8CC: D3D8401D 1800019E
	v_mul_f32_e32 v29, v28, v29                                // 00000000C8D4: 0A3A3B1C
	v_accvgpr_write_b32 a158, v29                              // 00000000C8D8: D3D9409E 1800011D
	v_accvgpr_read_b32 v29, a159                               // 00000000C8E0: D3D8401D 1800019F
	v_mul_f32_e32 v29, v28, v29                                // 00000000C8E8: 0A3A3B1C
	v_accvgpr_write_b32 a159, v29                              // 00000000C8EC: D3D9409F 1800011D
	v_accvgpr_read_b32 v29, a160                               // 00000000C8F4: D3D8401D 180001A0
	v_mul_f32_e32 v29, v28, v29                                // 00000000C8FC: 0A3A3B1C
	v_accvgpr_write_b32 a160, v29                              // 00000000C900: D3D940A0 1800011D
	v_accvgpr_read_b32 v29, a161                               // 00000000C908: D3D8401D 180001A1
	v_mul_f32_e32 v29, v28, v29                                // 00000000C910: 0A3A3B1C
	v_accvgpr_write_b32 a161, v29                              // 00000000C914: D3D940A1 1800011D
	v_accvgpr_read_b32 v29, a162                               // 00000000C91C: D3D8401D 180001A2
	v_mul_f32_e32 v29, v28, v29                                // 00000000C924: 0A3A3B1C
	v_accvgpr_write_b32 a162, v29                              // 00000000C928: D3D940A2 1800011D
	v_accvgpr_read_b32 v29, a163                               // 00000000C930: D3D8401D 180001A3
	v_mul_f32_e32 v29, v28, v29                                // 00000000C938: 0A3A3B1C
	v_accvgpr_write_b32 a163, v29                              // 00000000C93C: D3D940A3 1800011D
	v_accvgpr_read_b32 v29, a164                               // 00000000C944: D3D8401D 180001A4
	v_mul_f32_e32 v29, v28, v29                                // 00000000C94C: 0A3A3B1C
	v_accvgpr_write_b32 a164, v29                              // 00000000C950: D3D940A4 1800011D
	v_accvgpr_read_b32 v29, a165                               // 00000000C958: D3D8401D 180001A5
	v_mul_f32_e32 v29, v28, v29                                // 00000000C960: 0A3A3B1C
	v_accvgpr_write_b32 a165, v29                              // 00000000C964: D3D940A5 1800011D
	v_accvgpr_read_b32 v29, a166                               // 00000000C96C: D3D8401D 180001A6
	v_mul_f32_e32 v29, v28, v29                                // 00000000C974: 0A3A3B1C
	v_accvgpr_write_b32 a166, v29                              // 00000000C978: D3D940A6 1800011D
	v_accvgpr_read_b32 v29, a167                               // 00000000C980: D3D8401D 180001A7
	v_mul_f32_e32 v29, v28, v29                                // 00000000C988: 0A3A3B1C
	v_accvgpr_write_b32 a167, v29                              // 00000000C98C: D3D940A7 1800011D
	v_accvgpr_read_b32 v29, a168                               // 00000000C994: D3D8401D 180001A8
	v_mul_f32_e32 v29, v28, v29                                // 00000000C99C: 0A3A3B1C
	v_accvgpr_write_b32 a168, v29                              // 00000000C9A0: D3D940A8 1800011D
	v_accvgpr_read_b32 v29, a169                               // 00000000C9A8: D3D8401D 180001A9
	v_mul_f32_e32 v29, v28, v29                                // 00000000C9B0: 0A3A3B1C
	v_accvgpr_write_b32 a169, v29                              // 00000000C9B4: D3D940A9 1800011D
	v_accvgpr_read_b32 v29, a170                               // 00000000C9BC: D3D8401D 180001AA
	v_mul_f32_e32 v29, v28, v29                                // 00000000C9C4: 0A3A3B1C
	v_accvgpr_write_b32 a170, v29                              // 00000000C9C8: D3D940AA 1800011D
	v_accvgpr_read_b32 v29, a171                               // 00000000C9D0: D3D8401D 180001AB
	v_mul_f32_e32 v29, v28, v29                                // 00000000C9D8: 0A3A3B1C
	v_accvgpr_write_b32 a171, v29                              // 00000000C9DC: D3D940AB 1800011D
	v_accvgpr_read_b32 v29, a172                               // 00000000C9E4: D3D8401D 180001AC
	v_mul_f32_e32 v29, v28, v29                                // 00000000C9EC: 0A3A3B1C
	v_accvgpr_write_b32 a172, v29                              // 00000000C9F0: D3D940AC 1800011D
	v_accvgpr_read_b32 v29, a173                               // 00000000C9F8: D3D8401D 180001AD
	v_mul_f32_e32 v29, v28, v29                                // 00000000CA00: 0A3A3B1C
	v_accvgpr_write_b32 a173, v29                              // 00000000CA04: D3D940AD 1800011D
	v_accvgpr_read_b32 v29, a174                               // 00000000CA0C: D3D8401D 180001AE
	v_mul_f32_e32 v29, v28, v29                                // 00000000CA14: 0A3A3B1C
	v_accvgpr_write_b32 a174, v29                              // 00000000CA18: D3D940AE 1800011D
	v_accvgpr_read_b32 v29, a175                               // 00000000CA20: D3D8401D 180001AF
	v_mul_f32_e32 v29, v28, v29                                // 00000000CA28: 0A3A3B1C
	v_accvgpr_write_b32 a175, v29                              // 00000000CA2C: D3D940AF 1800011D
	v_accvgpr_read_b32 v29, a176                               // 00000000CA34: D3D8401D 180001B0
	v_mul_f32_e32 v29, v28, v29                                // 00000000CA3C: 0A3A3B1C
	v_accvgpr_write_b32 a176, v29                              // 00000000CA40: D3D940B0 1800011D
	v_accvgpr_read_b32 v29, a177                               // 00000000CA48: D3D8401D 180001B1
	v_mul_f32_e32 v29, v28, v29                                // 00000000CA50: 0A3A3B1C
	v_accvgpr_write_b32 a177, v29                              // 00000000CA54: D3D940B1 1800011D
	v_accvgpr_read_b32 v29, a178                               // 00000000CA5C: D3D8401D 180001B2
	v_mul_f32_e32 v29, v28, v29                                // 00000000CA64: 0A3A3B1C
	v_accvgpr_write_b32 a178, v29                              // 00000000CA68: D3D940B2 1800011D
	v_accvgpr_read_b32 v29, a179                               // 00000000CA70: D3D8401D 180001B3
	v_mul_f32_e32 v29, v28, v29                                // 00000000CA78: 0A3A3B1C
	v_accvgpr_write_b32 a179, v29                              // 00000000CA7C: D3D940B3 1800011D
	v_accvgpr_read_b32 v29, a180                               // 00000000CA84: D3D8401D 180001B4
	v_mul_f32_e32 v29, v28, v29                                // 00000000CA8C: 0A3A3B1C
	v_accvgpr_write_b32 a180, v29                              // 00000000CA90: D3D940B4 1800011D
	v_accvgpr_read_b32 v29, a181                               // 00000000CA98: D3D8401D 180001B5
	v_mul_f32_e32 v29, v28, v29                                // 00000000CAA0: 0A3A3B1C
	v_accvgpr_write_b32 a181, v29                              // 00000000CAA4: D3D940B5 1800011D
	v_accvgpr_read_b32 v29, a182                               // 00000000CAAC: D3D8401D 180001B6
	v_mul_f32_e32 v29, v28, v29                                // 00000000CAB4: 0A3A3B1C
	v_accvgpr_write_b32 a182, v29                              // 00000000CAB8: D3D940B6 1800011D
	v_accvgpr_read_b32 v29, a183                               // 00000000CAC0: D3D8401D 180001B7
	v_mul_f32_e32 v29, v28, v29                                // 00000000CAC8: 0A3A3B1C
	v_accvgpr_write_b32 a183, v29                              // 00000000CACC: D3D940B7 1800011D
	v_accvgpr_read_b32 v29, a184                               // 00000000CAD4: D3D8401D 180001B8
	v_mul_f32_e32 v29, v28, v29                                // 00000000CADC: 0A3A3B1C
	v_accvgpr_write_b32 a184, v29                              // 00000000CAE0: D3D940B8 1800011D
	v_accvgpr_read_b32 v29, a185                               // 00000000CAE8: D3D8401D 180001B9
	v_mul_f32_e32 v29, v28, v29                                // 00000000CAF0: 0A3A3B1C
	v_accvgpr_write_b32 a185, v29                              // 00000000CAF4: D3D940B9 1800011D
	v_accvgpr_read_b32 v29, a186                               // 00000000CAFC: D3D8401D 180001BA
	v_mul_f32_e32 v29, v28, v29                                // 00000000CB04: 0A3A3B1C
	v_accvgpr_write_b32 a186, v29                              // 00000000CB08: D3D940BA 1800011D
	v_accvgpr_read_b32 v29, a187                               // 00000000CB10: D3D8401D 180001BB
	v_mul_f32_e32 v29, v28, v29                                // 00000000CB18: 0A3A3B1C
	v_accvgpr_write_b32 a187, v29                              // 00000000CB1C: D3D940BB 1800011D
	v_accvgpr_read_b32 v29, a188                               // 00000000CB24: D3D8401D 180001BC
	v_mul_f32_e32 v29, v28, v29                                // 00000000CB2C: 0A3A3B1C
	v_accvgpr_write_b32 a188, v29                              // 00000000CB30: D3D940BC 1800011D
	v_accvgpr_read_b32 v29, a189                               // 00000000CB38: D3D8401D 180001BD
	v_mul_f32_e32 v29, v28, v29                                // 00000000CB40: 0A3A3B1C
	v_accvgpr_write_b32 a189, v29                              // 00000000CB44: D3D940BD 1800011D
	v_accvgpr_read_b32 v29, a190                               // 00000000CB4C: D3D8401D 180001BE
	v_mul_f32_e32 v29, v28, v29                                // 00000000CB54: 0A3A3B1C
	v_accvgpr_write_b32 a190, v29                              // 00000000CB58: D3D940BE 1800011D
	v_accvgpr_read_b32 v29, a191                               // 00000000CB60: D3D8401D 180001BF
	v_mul_f32_e32 v29, v28, v29                                // 00000000CB68: 0A3A3B1C
	v_accvgpr_write_b32 a191, v29                              // 00000000CB6C: D3D940BF 1800011D
	v_accvgpr_read_b32 v29, a192                               // 00000000CB74: D3D8401D 180001C0
	v_mul_f32_e32 v29, v28, v29                                // 00000000CB7C: 0A3A3B1C
	v_accvgpr_write_b32 a192, v29                              // 00000000CB80: D3D940C0 1800011D
	v_accvgpr_read_b32 v29, a193                               // 00000000CB88: D3D8401D 180001C1
	v_mul_f32_e32 v29, v28, v29                                // 00000000CB90: 0A3A3B1C
	v_accvgpr_write_b32 a193, v29                              // 00000000CB94: D3D940C1 1800011D
	v_accvgpr_read_b32 v29, a194                               // 00000000CB9C: D3D8401D 180001C2
	v_mul_f32_e32 v29, v28, v29                                // 00000000CBA4: 0A3A3B1C
	v_accvgpr_write_b32 a194, v29                              // 00000000CBA8: D3D940C2 1800011D
	v_accvgpr_read_b32 v29, a195                               // 00000000CBB0: D3D8401D 180001C3
	v_mul_f32_e32 v29, v28, v29                                // 00000000CBB8: 0A3A3B1C
	v_accvgpr_write_b32 a195, v29                              // 00000000CBBC: D3D940C3 1800011D
	v_accvgpr_read_b32 v29, a196                               // 00000000CBC4: D3D8401D 180001C4
	v_mul_f32_e32 v29, v28, v29                                // 00000000CBCC: 0A3A3B1C
	v_accvgpr_write_b32 a196, v29                              // 00000000CBD0: D3D940C4 1800011D
	v_accvgpr_read_b32 v29, a197                               // 00000000CBD8: D3D8401D 180001C5
	v_mul_f32_e32 v29, v28, v29                                // 00000000CBE0: 0A3A3B1C
	v_accvgpr_write_b32 a197, v29                              // 00000000CBE4: D3D940C5 1800011D
	v_accvgpr_read_b32 v29, a198                               // 00000000CBEC: D3D8401D 180001C6
	v_mul_f32_e32 v29, v28, v29                                // 00000000CBF4: 0A3A3B1C
	v_accvgpr_write_b32 a198, v29                              // 00000000CBF8: D3D940C6 1800011D
	v_accvgpr_read_b32 v29, a199                               // 00000000CC00: D3D8401D 180001C7
	v_mul_f32_e32 v29, v28, v29                                // 00000000CC08: 0A3A3B1C
	v_accvgpr_write_b32 a199, v29                              // 00000000CC0C: D3D940C7 1800011D
	v_accvgpr_read_b32 v29, a200                               // 00000000CC14: D3D8401D 180001C8
	v_mul_f32_e32 v29, v28, v29                                // 00000000CC1C: 0A3A3B1C
	v_accvgpr_write_b32 a200, v29                              // 00000000CC20: D3D940C8 1800011D
	v_accvgpr_read_b32 v29, a201                               // 00000000CC28: D3D8401D 180001C9
	v_mul_f32_e32 v29, v28, v29                                // 00000000CC30: 0A3A3B1C
	v_accvgpr_write_b32 a201, v29                              // 00000000CC34: D3D940C9 1800011D
	v_accvgpr_read_b32 v29, a202                               // 00000000CC3C: D3D8401D 180001CA
	v_mul_f32_e32 v29, v28, v29                                // 00000000CC44: 0A3A3B1C
	v_accvgpr_write_b32 a202, v29                              // 00000000CC48: D3D940CA 1800011D
	v_accvgpr_read_b32 v29, a203                               // 00000000CC50: D3D8401D 180001CB
	v_mul_f32_e32 v29, v28, v29                                // 00000000CC58: 0A3A3B1C
	v_accvgpr_write_b32 a203, v29                              // 00000000CC5C: D3D940CB 1800011D
	v_accvgpr_read_b32 v29, a204                               // 00000000CC64: D3D8401D 180001CC
	v_mul_f32_e32 v29, v28, v29                                // 00000000CC6C: 0A3A3B1C
	v_accvgpr_write_b32 a204, v29                              // 00000000CC70: D3D940CC 1800011D
	v_accvgpr_read_b32 v29, a205                               // 00000000CC78: D3D8401D 180001CD
	v_mul_f32_e32 v29, v28, v29                                // 00000000CC80: 0A3A3B1C
	v_accvgpr_write_b32 a205, v29                              // 00000000CC84: D3D940CD 1800011D
	v_accvgpr_read_b32 v29, a206                               // 00000000CC8C: D3D8401D 180001CE
	v_mul_f32_e32 v29, v28, v29                                // 00000000CC94: 0A3A3B1C
	v_accvgpr_write_b32 a206, v29                              // 00000000CC98: D3D940CE 1800011D
	v_accvgpr_read_b32 v29, a207                               // 00000000CCA0: D3D8401D 180001CF
	v_mul_f32_e32 v29, v28, v29                                // 00000000CCA8: 0A3A3B1C
	v_accvgpr_write_b32 a207, v29                              // 00000000CCAC: D3D940CF 1800011D
	v_accvgpr_read_b32 v29, a208                               // 00000000CCB4: D3D8401D 180001D0
	v_mul_f32_e32 v29, v28, v29                                // 00000000CCBC: 0A3A3B1C
	v_accvgpr_write_b32 a208, v29                              // 00000000CCC0: D3D940D0 1800011D
	v_accvgpr_read_b32 v29, a209                               // 00000000CCC8: D3D8401D 180001D1
	v_mul_f32_e32 v29, v28, v29                                // 00000000CCD0: 0A3A3B1C
	v_accvgpr_write_b32 a209, v29                              // 00000000CCD4: D3D940D1 1800011D
	v_accvgpr_read_b32 v29, a210                               // 00000000CCDC: D3D8401D 180001D2
	v_mul_f32_e32 v29, v28, v29                                // 00000000CCE4: 0A3A3B1C
	v_accvgpr_write_b32 a210, v29                              // 00000000CCE8: D3D940D2 1800011D
	v_accvgpr_read_b32 v29, a211                               // 00000000CCF0: D3D8401D 180001D3
	v_mul_f32_e32 v29, v28, v29                                // 00000000CCF8: 0A3A3B1C
	v_accvgpr_write_b32 a211, v29                              // 00000000CCFC: D3D940D3 1800011D
	v_accvgpr_read_b32 v29, a212                               // 00000000CD04: D3D8401D 180001D4
	v_mul_f32_e32 v29, v28, v29                                // 00000000CD0C: 0A3A3B1C
	v_accvgpr_write_b32 a212, v29                              // 00000000CD10: D3D940D4 1800011D
	v_accvgpr_read_b32 v29, a213                               // 00000000CD18: D3D8401D 180001D5
	v_mul_f32_e32 v29, v28, v29                                // 00000000CD20: 0A3A3B1C
	v_accvgpr_write_b32 a213, v29                              // 00000000CD24: D3D940D5 1800011D
	v_accvgpr_read_b32 v29, a214                               // 00000000CD2C: D3D8401D 180001D6
	v_mul_f32_e32 v29, v28, v29                                // 00000000CD34: 0A3A3B1C
	v_accvgpr_write_b32 a214, v29                              // 00000000CD38: D3D940D6 1800011D
	v_accvgpr_read_b32 v29, a215                               // 00000000CD40: D3D8401D 180001D7
	v_mul_f32_e32 v29, v28, v29                                // 00000000CD48: 0A3A3B1C
	v_accvgpr_write_b32 a215, v29                              // 00000000CD4C: D3D940D7 1800011D
	v_accvgpr_read_b32 v29, a216                               // 00000000CD54: D3D8401D 180001D8
	v_mul_f32_e32 v29, v28, v29                                // 00000000CD5C: 0A3A3B1C
	v_accvgpr_write_b32 a216, v29                              // 00000000CD60: D3D940D8 1800011D
	v_accvgpr_read_b32 v29, a217                               // 00000000CD68: D3D8401D 180001D9
	v_mul_f32_e32 v29, v28, v29                                // 00000000CD70: 0A3A3B1C
	v_accvgpr_write_b32 a217, v29                              // 00000000CD74: D3D940D9 1800011D
	v_accvgpr_read_b32 v29, a218                               // 00000000CD7C: D3D8401D 180001DA
	v_mul_f32_e32 v29, v28, v29                                // 00000000CD84: 0A3A3B1C
	v_accvgpr_write_b32 a218, v29                              // 00000000CD88: D3D940DA 1800011D
	v_accvgpr_read_b32 v29, a219                               // 00000000CD90: D3D8401D 180001DB
	v_mul_f32_e32 v29, v28, v29                                // 00000000CD98: 0A3A3B1C
	v_accvgpr_write_b32 a219, v29                              // 00000000CD9C: D3D940DB 1800011D
	v_accvgpr_read_b32 v29, a220                               // 00000000CDA4: D3D8401D 180001DC
	v_mul_f32_e32 v29, v28, v29                                // 00000000CDAC: 0A3A3B1C
	v_accvgpr_write_b32 a220, v29                              // 00000000CDB0: D3D940DC 1800011D
	v_accvgpr_read_b32 v29, a221                               // 00000000CDB8: D3D8401D 180001DD
	v_mul_f32_e32 v29, v28, v29                                // 00000000CDC0: 0A3A3B1C
	v_accvgpr_write_b32 a221, v29                              // 00000000CDC4: D3D940DD 1800011D
	v_accvgpr_read_b32 v29, a222                               // 00000000CDCC: D3D8401D 180001DE
	v_mul_f32_e32 v29, v28, v29                                // 00000000CDD4: 0A3A3B1C
	v_accvgpr_write_b32 a222, v29                              // 00000000CDD8: D3D940DE 1800011D
	v_accvgpr_read_b32 v29, a223                               // 00000000CDE0: D3D8401D 180001DF
	v_mul_f32_e32 v29, v28, v29                                // 00000000CDE8: 0A3A3B1C
	v_accvgpr_write_b32 a223, v29                              // 00000000CDEC: D3D940DF 1800011D
	v_accvgpr_read_b32 v29, a224                               // 00000000CDF4: D3D8401D 180001E0
	v_mul_f32_e32 v29, v28, v29                                // 00000000CDFC: 0A3A3B1C
	v_accvgpr_write_b32 a224, v29                              // 00000000CE00: D3D940E0 1800011D
	v_accvgpr_read_b32 v29, a225                               // 00000000CE08: D3D8401D 180001E1
	v_mul_f32_e32 v29, v28, v29                                // 00000000CE10: 0A3A3B1C
	v_accvgpr_write_b32 a225, v29                              // 00000000CE14: D3D940E1 1800011D
	v_accvgpr_read_b32 v29, a226                               // 00000000CE1C: D3D8401D 180001E2
	v_mul_f32_e32 v29, v28, v29                                // 00000000CE24: 0A3A3B1C
	v_accvgpr_write_b32 a226, v29                              // 00000000CE28: D3D940E2 1800011D
	v_accvgpr_read_b32 v29, a227                               // 00000000CE30: D3D8401D 180001E3
	v_mul_f32_e32 v29, v28, v29                                // 00000000CE38: 0A3A3B1C
	v_accvgpr_write_b32 a227, v29                              // 00000000CE3C: D3D940E3 1800011D
	v_accvgpr_read_b32 v29, a228                               // 00000000CE44: D3D8401D 180001E4
	v_mul_f32_e32 v29, v28, v29                                // 00000000CE4C: 0A3A3B1C
	v_accvgpr_write_b32 a228, v29                              // 00000000CE50: D3D940E4 1800011D
	v_accvgpr_read_b32 v29, a229                               // 00000000CE58: D3D8401D 180001E5
	v_mul_f32_e32 v29, v28, v29                                // 00000000CE60: 0A3A3B1C
	v_accvgpr_write_b32 a229, v29                              // 00000000CE64: D3D940E5 1800011D
	v_accvgpr_read_b32 v29, a230                               // 00000000CE6C: D3D8401D 180001E6
	v_mul_f32_e32 v29, v28, v29                                // 00000000CE74: 0A3A3B1C
	v_accvgpr_write_b32 a230, v29                              // 00000000CE78: D3D940E6 1800011D
	v_accvgpr_read_b32 v29, a231                               // 00000000CE80: D3D8401D 180001E7
	v_mul_f32_e32 v29, v28, v29                                // 00000000CE88: 0A3A3B1C
	v_accvgpr_write_b32 a231, v29                              // 00000000CE8C: D3D940E7 1800011D
	v_accvgpr_read_b32 v29, a232                               // 00000000CE94: D3D8401D 180001E8
	v_mul_f32_e32 v29, v28, v29                                // 00000000CE9C: 0A3A3B1C
	v_accvgpr_write_b32 a232, v29                              // 00000000CEA0: D3D940E8 1800011D
	v_accvgpr_read_b32 v29, a233                               // 00000000CEA8: D3D8401D 180001E9
	v_mul_f32_e32 v29, v28, v29                                // 00000000CEB0: 0A3A3B1C
	v_accvgpr_write_b32 a233, v29                              // 00000000CEB4: D3D940E9 1800011D
	v_accvgpr_read_b32 v29, a234                               // 00000000CEBC: D3D8401D 180001EA
	v_mul_f32_e32 v29, v28, v29                                // 00000000CEC4: 0A3A3B1C
	v_accvgpr_write_b32 a234, v29                              // 00000000CEC8: D3D940EA 1800011D
	v_accvgpr_read_b32 v29, a235                               // 00000000CED0: D3D8401D 180001EB
	v_mul_f32_e32 v29, v28, v29                                // 00000000CED8: 0A3A3B1C
	v_accvgpr_write_b32 a235, v29                              // 00000000CEDC: D3D940EB 1800011D
	v_accvgpr_read_b32 v29, a236                               // 00000000CEE4: D3D8401D 180001EC
	v_mul_f32_e32 v29, v28, v29                                // 00000000CEEC: 0A3A3B1C
	v_accvgpr_write_b32 a236, v29                              // 00000000CEF0: D3D940EC 1800011D
	v_accvgpr_read_b32 v29, a237                               // 00000000CEF8: D3D8401D 180001ED
	v_mul_f32_e32 v29, v28, v29                                // 00000000CF00: 0A3A3B1C
	v_accvgpr_write_b32 a237, v29                              // 00000000CF04: D3D940ED 1800011D
	v_accvgpr_read_b32 v29, a238                               // 00000000CF0C: D3D8401D 180001EE
	v_mul_f32_e32 v29, v28, v29                                // 00000000CF14: 0A3A3B1C
	v_accvgpr_write_b32 a238, v29                              // 00000000CF18: D3D940EE 1800011D
	v_accvgpr_read_b32 v29, a239                               // 00000000CF20: D3D8401D 180001EF
	v_mul_f32_e32 v29, v28, v29                                // 00000000CF28: 0A3A3B1C
	v_accvgpr_write_b32 a239, v29                              // 00000000CF2C: D3D940EF 1800011D
	v_mfma_f32_32x32x64_f8f6f4 v[64:79], a[72:79], v[32:39], v[64:79]// 00000000CF34: D3AE0040 0D024148
	v_mfma_f32_32x32x64_f8f6f4 v[80:95], a[80:87], v[32:39], v[80:95]// 00000000CF3C: D3AE0050 0D424150
	v_mfma_f32_32x32x64_f8f6f4 v[96:111], a[88:95], v[32:39], v[96:111]// 00000000CF44: D3AE0060 0D824158
	v_mfma_f32_32x32x64_f8f6f4 v[112:127], a[96:103], v[32:39], v[112:127]// 00000000CF4C: D3AE0070 0DC24160
	v_mfma_f32_32x32x64_f8f6f4 v[128:143], a[104:111], v[32:39], v[128:143]// 00000000CF54: D3AE0080 0E024168
	v_mfma_f32_32x32x64_f8f6f4 v[144:159], a[112:119], v[32:39], v[144:159]// 00000000CF5C: D3AE0090 0E424170
	v_mfma_f32_32x32x64_f8f6f4 v[160:175], a[120:127], v[32:39], v[160:175]// 00000000CF64: D3AE00A0 0E824178
	v_mfma_f32_32x32x64_f8f6f4 v[176:191], a[128:135], v[32:39], v[176:191]// 00000000CF6C: D3AE00B0 0EC24180
	ds_read_b64_tr_b8 a[72:73], v5 offset:4096                 // 00000000CF74: DBC41000 48000005
	ds_read_b64_tr_b8 a[74:75], v6 offset:4096                 // 00000000CF7C: DBC41000 4A000006
	ds_read_b64_tr_b8 a[76:77], v5 offset:22528                // 00000000CF84: DBC45800 4C000005
	ds_read_b64_tr_b8 a[78:79], v6 offset:22528                // 00000000CF8C: DBC45800 4E000006
	ds_read_b64_tr_b8 a[80:81], v7 offset:4096                 // 00000000CF94: DBC41000 50000007
	ds_read_b64_tr_b8 a[82:83], v8 offset:4096                 // 00000000CF9C: DBC41000 52000008
	ds_read_b64_tr_b8 a[84:85], v7 offset:22528                // 00000000CFA4: DBC45800 54000007
	ds_read_b64_tr_b8 a[86:87], v8 offset:22528                // 00000000CFAC: DBC45800 56000008
	ds_read_b64_tr_b8 a[88:89], v5 offset:5120                 // 00000000CFB4: DBC41400 58000005
	ds_read_b64_tr_b8 a[90:91], v6 offset:5120                 // 00000000CFBC: DBC41400 5A000006
	ds_read_b64_tr_b8 a[92:93], v5 offset:23552                // 00000000CFC4: DBC45C00 5C000005
	ds_read_b64_tr_b8 a[94:95], v6 offset:23552                // 00000000CFCC: DBC45C00 5E000006
	ds_read_b64_tr_b8 a[96:97], v7 offset:5120                 // 00000000CFD4: DBC41400 60000007
	ds_read_b64_tr_b8 a[98:99], v8 offset:5120                 // 00000000CFDC: DBC41400 62000008
	ds_read_b64_tr_b8 a[100:101], v7 offset:23552              // 00000000CFE4: DBC45C00 64000007
	ds_read_b64_tr_b8 a[102:103], v8 offset:23552              // 00000000CFEC: DBC45C00 66000008
	ds_read_b64_tr_b8 a[104:105], v5 offset:6144               // 00000000CFF4: DBC41800 68000005
	ds_read_b64_tr_b8 a[106:107], v6 offset:6144               // 00000000CFFC: DBC41800 6A000006
	ds_read_b64_tr_b8 a[108:109], v5 offset:24576              // 00000000D004: DBC46000 6C000005
	ds_read_b64_tr_b8 a[110:111], v6 offset:24576              // 00000000D00C: DBC46000 6E000006
	ds_read_b64_tr_b8 a[112:113], v7 offset:6144               // 00000000D014: DBC41800 70000007
	ds_read_b64_tr_b8 a[114:115], v8 offset:6144               // 00000000D01C: DBC41800 72000008
	ds_read_b64_tr_b8 a[116:117], v7 offset:24576              // 00000000D024: DBC46000 74000007
	ds_read_b64_tr_b8 a[118:119], v8 offset:24576              // 00000000D02C: DBC46000 76000008
	ds_read_b64_tr_b8 a[120:121], v5 offset:7168               // 00000000D034: DBC41C00 78000005
	ds_read_b64_tr_b8 a[122:123], v6 offset:7168               // 00000000D03C: DBC41C00 7A000006
	ds_read_b64_tr_b8 a[124:125], v5 offset:25600              // 00000000D044: DBC46400 7C000005
	ds_read_b64_tr_b8 a[126:127], v6 offset:25600              // 00000000D04C: DBC46400 7E000006
	ds_read_b64_tr_b8 a[128:129], v7 offset:7168               // 00000000D054: DBC41C00 80000007
	ds_read_b64_tr_b8 a[130:131], v8 offset:7168               // 00000000D05C: DBC41C00 82000008
	ds_read_b64_tr_b8 a[132:133], v7 offset:25600              // 00000000D064: DBC46400 84000007
	ds_read_b64_tr_b8 a[134:135], v8 offset:25600              // 00000000D06C: DBC46400 86000008
	s_waitcnt lgkmcnt(0)                                       // 00000000D074: BF8CC07F
	v_mfma_f32_32x32x64_f8f6f4 v[192:207], a[72:79], v[32:39], v[192:207]// 00000000D078: D3AE00C0 0F024148
	v_mfma_f32_32x32x64_f8f6f4 v[208:223], a[80:87], v[32:39], v[208:223]// 00000000D080: D3AE00D0 0F424150
	v_mfma_f32_32x32x64_f8f6f4 a[144:159], a[88:95], v[32:39], a[144:159]// 00000000D088: D3AE8090 0E424158
	v_mfma_f32_32x32x64_f8f6f4 a[160:175], a[96:103], v[32:39], a[160:175]// 00000000D090: D3AE80A0 0E824160
	v_mfma_f32_32x32x64_f8f6f4 a[176:191], a[104:111], v[32:39], a[176:191]// 00000000D098: D3AE80B0 0EC24168
	v_mfma_f32_32x32x64_f8f6f4 a[192:207], a[112:119], v[32:39], a[192:207]// 00000000D0A0: D3AE80C0 0F024170
	v_mfma_f32_32x32x64_f8f6f4 a[208:223], a[120:127], v[32:39], a[208:223]// 00000000D0A8: D3AE80D0 0F424178
	v_mfma_f32_32x32x64_f8f6f4 a[224:239], a[128:135], v[32:39], a[224:239]// 00000000D0B0: D3AE80E0 0F824180
	s_nop 8                                                    // 00000000D0B8: BF800008
	s_branch label_DE28                                        // 00000000D0BC: BF820BD8

000000000000d0c0 <label_ACC0>:
	s_waitcnt lgkmcnt(4)                                       // 00000000D0C0: BF8CC47F
	v_mfma_f32_32x32x64_f8f6f4 v[32:47], a[72:79], a[0:7], 0   // 00000000D0C4: D3AE0020 1A020148
	v_mfma_f32_32x32x64_f8f6f4 v[32:47], a[80:87], a[8:15], v[32:47]// 00000000D0CC: D3AE0020 1C821150
	v_mfma_f32_32x32x64_f8f6f4 v[32:47], a[88:95], a[16:23], v[32:47]// 00000000D0D4: D3AE0020 1C822158
	ds_read_b128 a[72:75], v20 offset:18432                    // 00000000D0DC: DBFE4800 48000014
	ds_read_b128 a[76:79], v21 offset:18432                    // 00000000D0E4: DBFE4800 4C000015
	v_mfma_f32_32x32x64_f8f6f4 v[32:47], a[96:103], a[24:31], v[32:47]// 00000000D0EC: D3AE0020 1C823160
	ds_read_b128 a[80:83], v20 offset:19456                    // 00000000D0F4: DBFE4C00 50000014
	ds_read_b128 a[84:87], v21 offset:19456                    // 00000000D0FC: DBFE4C00 54000015
	v_mfma_f32_32x32x64_f8f6f4 v[32:47], a[104:111], a[32:39], v[32:47]// 00000000D104: D3AE0020 1C824168
	ds_read_b128 a[88:91], v20 offset:20480                    // 00000000D10C: DBFE5000 58000014
	ds_read_b128 a[92:95], v21 offset:20480                    // 00000000D114: DBFE5000 5C000015
	v_mfma_f32_32x32x64_f8f6f4 v[32:47], a[112:119], a[40:47], v[32:47]// 00000000D11C: D3AE0020 1C825170
	ds_read_b128 a[96:99], v20 offset:21504                    // 00000000D124: DBFE5400 60000014
	ds_read_b128 a[100:103], v21 offset:21504                  // 00000000D12C: DBFE5400 64000015
	v_mfma_f32_32x32x64_f8f6f4 v[32:47], a[120:127], a[48:55], v[32:47]// 00000000D134: D3AE0020 1C826178
	ds_read_b128 a[104:107], v20 offset:22528                  // 00000000D13C: DBFE5800 68000014
	ds_read_b128 a[108:111], v21 offset:22528                  // 00000000D144: DBFE5800 6C000015
	v_mfma_f32_32x32x64_f8f6f4 v[32:47], a[128:135], a[56:63], v[32:47]// 00000000D14C: D3AE0020 1C827180
	ds_read_b128 a[112:115], v20 offset:23552                  // 00000000D154: DBFE5C00 70000014
	ds_read_b128 a[116:119], v21 offset:23552                  // 00000000D15C: DBFE5C00 74000015
	v_mfma_f32_32x32x64_f8f6f4 v[32:47], a[136:143], a[64:71], v[32:47]// 00000000D164: D3AE0020 1C828188
	ds_read_b128 a[120:123], v20 offset:24576                  // 00000000D16C: DBFE6000 78000014
	ds_read_b128 a[124:127], v21 offset:24576                  // 00000000D174: DBFE6000 7C000015
	ds_read_b128 a[128:131], v20 offset:25600                  // 00000000D17C: DBFE6400 80000014
	ds_read_b128 a[132:135], v21 offset:25600                  // 00000000D184: DBFE6400 84000015
	ds_read_b128 a[136:139], v20 offset:26624                  // 00000000D18C: DBFE6800 88000014
	ds_read_b128 a[140:143], v21 offset:26624                  // 00000000D194: DBFE6800 8C000015
	s_waitcnt lgkmcnt(4)                                       // 00000000D19C: BF8CC47F
	v_mfma_f32_32x32x64_f8f6f4 v[48:63], a[72:79], a[0:7], 0   // 00000000D1A0: D3AE0030 1A020148
	v_mfma_f32_32x32x64_f8f6f4 v[48:63], a[80:87], a[8:15], v[48:63]// 00000000D1A8: D3AE0030 1CC21150
	v_mfma_f32_32x32x64_f8f6f4 v[48:63], a[88:95], a[16:23], v[48:63]// 00000000D1B0: D3AE0030 1CC22158
	ds_read_b64_tr_b8 a[72:73], v9                             // 00000000D1B8: DBC40000 48000009
	ds_read_b64_tr_b8 a[74:75], v10                            // 00000000D1C0: DBC40000 4A00000A
	ds_read_b64_tr_b8 a[76:77], v9 offset:18432                // 00000000D1C8: DBC44800 4C000009
	ds_read_b64_tr_b8 a[78:79], v10 offset:18432               // 00000000D1D0: DBC44800 4E00000A
	v_mfma_f32_32x32x64_f8f6f4 v[48:63], a[96:103], a[24:31], v[48:63]// 00000000D1D8: D3AE0030 1CC23160
	ds_read_b64_tr_b8 a[80:81], v11                            // 00000000D1E0: DBC40000 5000000B
	ds_read_b64_tr_b8 a[82:83], v12                            // 00000000D1E8: DBC40000 5200000C
	ds_read_b64_tr_b8 a[84:85], v11 offset:18432               // 00000000D1F0: DBC44800 5400000B
	ds_read_b64_tr_b8 a[86:87], v12 offset:18432               // 00000000D1F8: DBC44800 5600000C
	v_mfma_f32_32x32x64_f8f6f4 v[48:63], a[104:111], a[32:39], v[48:63]// 00000000D200: D3AE0030 1CC24168
	ds_read_b64_tr_b8 a[88:89], v9 offset:1024                 // 00000000D208: DBC40400 58000009
	ds_read_b64_tr_b8 a[90:91], v10 offset:1024                // 00000000D210: DBC40400 5A00000A
	ds_read_b64_tr_b8 a[92:93], v9 offset:19456                // 00000000D218: DBC44C00 5C000009
	ds_read_b64_tr_b8 a[94:95], v10 offset:19456               // 00000000D220: DBC44C00 5E00000A
	v_mfma_f32_32x32x64_f8f6f4 v[48:63], a[112:119], a[40:47], v[48:63]// 00000000D228: D3AE0030 1CC25170
	ds_read_b64_tr_b8 a[96:97], v11 offset:1024                // 00000000D230: DBC40400 6000000B
	ds_read_b64_tr_b8 a[98:99], v12 offset:1024                // 00000000D238: DBC40400 6200000C
	ds_read_b64_tr_b8 a[100:101], v11 offset:19456             // 00000000D240: DBC44C00 6400000B
	ds_read_b64_tr_b8 a[102:103], v12 offset:19456             // 00000000D248: DBC44C00 6600000C
	v_mfma_f32_32x32x64_f8f6f4 v[48:63], a[120:127], a[48:55], v[48:63]// 00000000D250: D3AE0030 1CC26178
	ds_read_b64_tr_b8 a[104:105], v9 offset:2048               // 00000000D258: DBC40800 68000009
	ds_read_b64_tr_b8 a[106:107], v10 offset:2048              // 00000000D260: DBC40800 6A00000A
	ds_read_b64_tr_b8 a[108:109], v9 offset:20480              // 00000000D268: DBC45000 6C000009
	ds_read_b64_tr_b8 a[110:111], v10 offset:20480             // 00000000D270: DBC45000 6E00000A
	v_mfma_f32_32x32x64_f8f6f4 v[48:63], a[128:135], a[56:63], v[48:63]// 00000000D278: D3AE0030 1CC27180
	ds_read_b64_tr_b8 a[112:113], v11 offset:2048              // 00000000D280: DBC40800 7000000B
	ds_read_b64_tr_b8 a[114:115], v12 offset:2048              // 00000000D288: DBC40800 7200000C
	ds_read_b64_tr_b8 a[116:117], v11 offset:20480             // 00000000D290: DBC45000 7400000B
	ds_read_b64_tr_b8 a[118:119], v12 offset:20480             // 00000000D298: DBC45000 7600000C
	v_mfma_f32_32x32x64_f8f6f4 v[48:63], a[136:143], a[64:71], v[48:63]// 00000000D2A0: D3AE0030 1CC28188
	ds_read_b64_tr_b8 a[120:121], v9 offset:3072               // 00000000D2A8: DBC40C00 78000009
	ds_read_b64_tr_b8 a[122:123], v10 offset:3072              // 00000000D2B0: DBC40C00 7A00000A
	ds_read_b64_tr_b8 a[124:125], v9 offset:21504              // 00000000D2B8: DBC45400 7C000009
	ds_read_b64_tr_b8 a[126:127], v10 offset:21504             // 00000000D2C0: DBC45400 7E00000A
	ds_read_b64_tr_b8 a[128:129], v11 offset:3072              // 00000000D2C8: DBC40C00 8000000B
	ds_read_b64_tr_b8 a[130:131], v12 offset:3072              // 00000000D2D0: DBC40C00 8200000C
	ds_read_b64_tr_b8 a[132:133], v11 offset:21504             // 00000000D2D8: DBC45400 8400000B
	ds_read_b64_tr_b8 a[134:135], v12 offset:21504             // 00000000D2E0: DBC45400 8600000C
	s_nop 8                                                    // 00000000D2E8: BF800008
	s_and_b32 s56, s48, 0xff                                   // 00000000D2EC: 8638FF30 000000FF
	v_mov_b32_e32 v29, s56                                     // 00000000D2F4: 7E3A0238
	v_lshrrev_b32_e32 v223, 5, v0                              // 00000000D2F8: 21BE0085
	v_mul_i32_i24_e32 v223, 4, v223                            // 00000000D2FC: 0DBFBE84
	v_add_u32_e32 v224, 1, v223                                // 00000000D300: 69C1BE81
	v_add_u32_e32 v225, 2, v223                                // 00000000D304: 69C3BE82
	v_add_u32_e32 v226, 3, v223                                // 00000000D308: 69C5BE83
	v_mov_b32_e32 v28, 0xff800000                              // 00000000D30C: 7E3802FF FF800000
	v_cmp_lt_u32_e64 s[36:37], v223, v29                       // 00000000D314: D0C90024 00023BDF
	v_add_u32_e32 v223, 8, v223                                // 00000000D31C: 69BFBE88
	s_nop 0                                                    // 00000000D320: BF800000
	v_cndmask_b32_e64 v32, v28, v32, s[36:37]                  // 00000000D324: D1000020 0092411C
	v_cmp_lt_u32_e64 s[36:37], v224, v29                       // 00000000D32C: D0C90024 00023BE0
	v_add_u32_e32 v224, 8, v224                                // 00000000D334: 69C1C088
	s_nop 0                                                    // 00000000D338: BF800000
	v_cndmask_b32_e64 v33, v28, v33, s[36:37]                  // 00000000D33C: D1000021 0092431C
	v_cmp_lt_u32_e64 s[36:37], v225, v29                       // 00000000D344: D0C90024 00023BE1
	v_add_u32_e32 v225, 8, v225                                // 00000000D34C: 69C3C288
	s_nop 0                                                    // 00000000D350: BF800000
	v_cndmask_b32_e64 v34, v28, v34, s[36:37]                  // 00000000D354: D1000022 0092451C
	v_cmp_lt_u32_e64 s[36:37], v226, v29                       // 00000000D35C: D0C90024 00023BE2
	v_add_u32_e32 v226, 8, v226                                // 00000000D364: 69C5C488
	s_nop 0                                                    // 00000000D368: BF800000
	v_cndmask_b32_e64 v35, v28, v35, s[36:37]                  // 00000000D36C: D1000023 0092471C
	v_cmp_lt_u32_e64 s[36:37], v223, v29                       // 00000000D374: D0C90024 00023BDF
	v_add_u32_e32 v223, 8, v223                                // 00000000D37C: 69BFBE88
	s_nop 0                                                    // 00000000D380: BF800000
	v_cndmask_b32_e64 v36, v28, v36, s[36:37]                  // 00000000D384: D1000024 0092491C
	v_cmp_lt_u32_e64 s[36:37], v224, v29                       // 00000000D38C: D0C90024 00023BE0
	v_add_u32_e32 v224, 8, v224                                // 00000000D394: 69C1C088
	s_nop 0                                                    // 00000000D398: BF800000
	v_cndmask_b32_e64 v37, v28, v37, s[36:37]                  // 00000000D39C: D1000025 00924B1C
	v_cmp_lt_u32_e64 s[36:37], v225, v29                       // 00000000D3A4: D0C90024 00023BE1
	v_add_u32_e32 v225, 8, v225                                // 00000000D3AC: 69C3C288
	s_nop 0                                                    // 00000000D3B0: BF800000
	v_cndmask_b32_e64 v38, v28, v38, s[36:37]                  // 00000000D3B4: D1000026 00924D1C
	v_cmp_lt_u32_e64 s[36:37], v226, v29                       // 00000000D3BC: D0C90024 00023BE2
	v_add_u32_e32 v226, 8, v226                                // 00000000D3C4: 69C5C488
	s_nop 0                                                    // 00000000D3C8: BF800000
	v_cndmask_b32_e64 v39, v28, v39, s[36:37]                  // 00000000D3CC: D1000027 00924F1C
	v_cmp_lt_u32_e64 s[36:37], v223, v29                       // 00000000D3D4: D0C90024 00023BDF
	v_add_u32_e32 v223, 8, v223                                // 00000000D3DC: 69BFBE88
	s_nop 0                                                    // 00000000D3E0: BF800000
	v_cndmask_b32_e64 v40, v28, v40, s[36:37]                  // 00000000D3E4: D1000028 0092511C
	v_cmp_lt_u32_e64 s[36:37], v224, v29                       // 00000000D3EC: D0C90024 00023BE0
	v_add_u32_e32 v224, 8, v224                                // 00000000D3F4: 69C1C088
	s_nop 0                                                    // 00000000D3F8: BF800000
	v_cndmask_b32_e64 v41, v28, v41, s[36:37]                  // 00000000D3FC: D1000029 0092531C
	v_cmp_lt_u32_e64 s[36:37], v225, v29                       // 00000000D404: D0C90024 00023BE1
	v_add_u32_e32 v225, 8, v225                                // 00000000D40C: 69C3C288
	s_nop 0                                                    // 00000000D410: BF800000
	v_cndmask_b32_e64 v42, v28, v42, s[36:37]                  // 00000000D414: D100002A 0092551C
	v_cmp_lt_u32_e64 s[36:37], v226, v29                       // 00000000D41C: D0C90024 00023BE2
	v_add_u32_e32 v226, 8, v226                                // 00000000D424: 69C5C488
	s_nop 0                                                    // 00000000D428: BF800000
	v_cndmask_b32_e64 v43, v28, v43, s[36:37]                  // 00000000D42C: D100002B 0092571C
	v_cmp_lt_u32_e64 s[36:37], v223, v29                       // 00000000D434: D0C90024 00023BDF
	v_add_u32_e32 v223, 8, v223                                // 00000000D43C: 69BFBE88
	s_nop 0                                                    // 00000000D440: BF800000
	v_cndmask_b32_e64 v44, v28, v44, s[36:37]                  // 00000000D444: D100002C 0092591C
	v_cmp_lt_u32_e64 s[36:37], v224, v29                       // 00000000D44C: D0C90024 00023BE0
	v_add_u32_e32 v224, 8, v224                                // 00000000D454: 69C1C088
	s_nop 0                                                    // 00000000D458: BF800000
	v_cndmask_b32_e64 v45, v28, v45, s[36:37]                  // 00000000D45C: D100002D 00925B1C
	v_cmp_lt_u32_e64 s[36:37], v225, v29                       // 00000000D464: D0C90024 00023BE1
	v_add_u32_e32 v225, 8, v225                                // 00000000D46C: 69C3C288
	s_nop 0                                                    // 00000000D470: BF800000
	v_cndmask_b32_e64 v46, v28, v46, s[36:37]                  // 00000000D474: D100002E 00925D1C
	v_cmp_lt_u32_e64 s[36:37], v226, v29                       // 00000000D47C: D0C90024 00023BE2
	v_add_u32_e32 v226, 8, v226                                // 00000000D484: 69C5C488
	s_nop 0                                                    // 00000000D488: BF800000
	v_cndmask_b32_e64 v47, v28, v47, s[36:37]                  // 00000000D48C: D100002F 00925F1C
	v_cmp_lt_u32_e64 s[36:37], v223, v29                       // 00000000D494: D0C90024 00023BDF
	v_add_u32_e32 v223, 8, v223                                // 00000000D49C: 69BFBE88
	s_nop 0                                                    // 00000000D4A0: BF800000
	v_cndmask_b32_e64 v48, v28, v48, s[36:37]                  // 00000000D4A4: D1000030 0092611C
	v_cmp_lt_u32_e64 s[36:37], v224, v29                       // 00000000D4AC: D0C90024 00023BE0
	v_add_u32_e32 v224, 8, v224                                // 00000000D4B4: 69C1C088
	s_nop 0                                                    // 00000000D4B8: BF800000
	v_cndmask_b32_e64 v49, v28, v49, s[36:37]                  // 00000000D4BC: D1000031 0092631C
	v_cmp_lt_u32_e64 s[36:37], v225, v29                       // 00000000D4C4: D0C90024 00023BE1
	v_add_u32_e32 v225, 8, v225                                // 00000000D4CC: 69C3C288
	s_nop 0                                                    // 00000000D4D0: BF800000
	v_cndmask_b32_e64 v50, v28, v50, s[36:37]                  // 00000000D4D4: D1000032 0092651C
	v_cmp_lt_u32_e64 s[36:37], v226, v29                       // 00000000D4DC: D0C90024 00023BE2
	v_add_u32_e32 v226, 8, v226                                // 00000000D4E4: 69C5C488
	s_nop 0                                                    // 00000000D4E8: BF800000
	v_cndmask_b32_e64 v51, v28, v51, s[36:37]                  // 00000000D4EC: D1000033 0092671C
	v_cmp_lt_u32_e64 s[36:37], v223, v29                       // 00000000D4F4: D0C90024 00023BDF
	v_add_u32_e32 v223, 8, v223                                // 00000000D4FC: 69BFBE88
	s_nop 0                                                    // 00000000D500: BF800000
	v_cndmask_b32_e64 v52, v28, v52, s[36:37]                  // 00000000D504: D1000034 0092691C
	v_cmp_lt_u32_e64 s[36:37], v224, v29                       // 00000000D50C: D0C90024 00023BE0
	v_add_u32_e32 v224, 8, v224                                // 00000000D514: 69C1C088
	s_nop 0                                                    // 00000000D518: BF800000
	v_cndmask_b32_e64 v53, v28, v53, s[36:37]                  // 00000000D51C: D1000035 00926B1C
	v_cmp_lt_u32_e64 s[36:37], v225, v29                       // 00000000D524: D0C90024 00023BE1
	v_add_u32_e32 v225, 8, v225                                // 00000000D52C: 69C3C288
	s_nop 0                                                    // 00000000D530: BF800000
	v_cndmask_b32_e64 v54, v28, v54, s[36:37]                  // 00000000D534: D1000036 00926D1C
	v_cmp_lt_u32_e64 s[36:37], v226, v29                       // 00000000D53C: D0C90024 00023BE2
	v_add_u32_e32 v226, 8, v226                                // 00000000D544: 69C5C488
	s_nop 0                                                    // 00000000D548: BF800000
	v_cndmask_b32_e64 v55, v28, v55, s[36:37]                  // 00000000D54C: D1000037 00926F1C
	v_cmp_lt_u32_e64 s[36:37], v223, v29                       // 00000000D554: D0C90024 00023BDF
	v_add_u32_e32 v223, 8, v223                                // 00000000D55C: 69BFBE88
	s_nop 0                                                    // 00000000D560: BF800000
	v_cndmask_b32_e64 v56, v28, v56, s[36:37]                  // 00000000D564: D1000038 0092711C
	v_cmp_lt_u32_e64 s[36:37], v224, v29                       // 00000000D56C: D0C90024 00023BE0
	v_add_u32_e32 v224, 8, v224                                // 00000000D574: 69C1C088
	s_nop 0                                                    // 00000000D578: BF800000
	v_cndmask_b32_e64 v57, v28, v57, s[36:37]                  // 00000000D57C: D1000039 0092731C
	v_cmp_lt_u32_e64 s[36:37], v225, v29                       // 00000000D584: D0C90024 00023BE1
	v_add_u32_e32 v225, 8, v225                                // 00000000D58C: 69C3C288
	s_nop 0                                                    // 00000000D590: BF800000
	v_cndmask_b32_e64 v58, v28, v58, s[36:37]                  // 00000000D594: D100003A 0092751C
	v_cmp_lt_u32_e64 s[36:37], v226, v29                       // 00000000D59C: D0C90024 00023BE2
	v_add_u32_e32 v226, 8, v226                                // 00000000D5A4: 69C5C488
	s_nop 0                                                    // 00000000D5A8: BF800000
	v_cndmask_b32_e64 v59, v28, v59, s[36:37]                  // 00000000D5AC: D100003B 0092771C
	v_cmp_lt_u32_e64 s[36:37], v223, v29                       // 00000000D5B4: D0C90024 00023BDF
	v_add_u32_e32 v223, 8, v223                                // 00000000D5BC: 69BFBE88
	s_nop 0                                                    // 00000000D5C0: BF800000
	v_cndmask_b32_e64 v60, v28, v60, s[36:37]                  // 00000000D5C4: D100003C 0092791C
	v_cmp_lt_u32_e64 s[36:37], v224, v29                       // 00000000D5CC: D0C90024 00023BE0
	v_add_u32_e32 v224, 8, v224                                // 00000000D5D4: 69C1C088
	s_nop 0                                                    // 00000000D5D8: BF800000
	v_cndmask_b32_e64 v61, v28, v61, s[36:37]                  // 00000000D5DC: D100003D 00927B1C
	v_cmp_lt_u32_e64 s[36:37], v225, v29                       // 00000000D5E4: D0C90024 00023BE1
	v_add_u32_e32 v225, 8, v225                                // 00000000D5EC: 69C3C288
	s_nop 0                                                    // 00000000D5F0: BF800000
	v_cndmask_b32_e64 v62, v28, v62, s[36:37]                  // 00000000D5F4: D100003E 00927D1C
	v_cmp_lt_u32_e64 s[36:37], v226, v29                       // 00000000D5FC: D0C90024 00023BE2
	v_add_u32_e32 v226, 8, v226                                // 00000000D604: 69C5C488
	s_nop 0                                                    // 00000000D608: BF800000
	v_cndmask_b32_e64 v63, v28, v63, s[36:37]                  // 00000000D60C: D100003F 00927F1C
	s_cmp_le_i32 s83, s82                                      // 00000000D614: BF055253
	s_cbranch_scc1 label_B56C                                  // 00000000D618: BF8500D4
	v_mov_b32_e32 v28, s82                                     // 00000000D61C: 7E380252
	s_cmp_eq_i32 s81, 1                                        // 00000000D620: BF008151
	s_cbranch_scc1 label_B248                                  // 00000000D624: BF850008
	s_cmp_eq_i32 s81, 2                                        // 00000000D628: BF008251
	s_cbranch_scc1 label_B23C                                  // 00000000D62C: BF850003
	v_add_i32 v28, s7, v28                                     // 00000000D630: D29C001C 00023807
	s_branch label_B248                                        // 00000000D638: BF820003

000000000000d63c <label_B23C>:
	s_lshr_b32 s56, s7, 1                                      // 00000000D63C: 8F388107
	v_add_u32_e32 v28, s56, v28                                // 00000000D640: 68383838
	s_branch label_B248                                        // 00000000D644: BF820000

000000000000d648 <label_B248>:
	s_sub_u32 s56, s83, 63                                     // 00000000D648: 80B8BF53
	v_lshrrev_b32_e32 v223, 5, v0                              // 00000000D64C: 21BE0085
	v_mul_i32_i24_e32 v223, 4, v223                            // 00000000D650: 0DBFBE84
	v_add_u32_e32 v223, s56, v223                              // 00000000D654: 69BFBE38
	v_add_u32_e32 v224, 1, v223                                // 00000000D658: 69C1BE81
	v_add_u32_e32 v225, 2, v223                                // 00000000D65C: 69C3BE82
	v_add_u32_e32 v226, 3, v223                                // 00000000D660: 69C5BE83
	v_mov_b32_e32 v31, 0xff800000                              // 00000000D664: 7E3E02FF FF800000
	v_cmp_le_i32_e64 s[36:37], v223, v28                       // 00000000D66C: D0C30024 000239DF
	s_nop 0                                                    // 00000000D674: BF800000
	v_cndmask_b32_e64 v32, v31, v32, s[36:37]                  // 00000000D678: D1000020 0092411F
	v_add_u32_e32 v223, 8, v223                                // 00000000D680: 69BFBE88
	v_cmp_le_i32_e64 s[36:37], v224, v28                       // 00000000D684: D0C30024 000239E0
	s_nop 0                                                    // 00000000D68C: BF800000
	v_cndmask_b32_e64 v33, v31, v33, s[36:37]                  // 00000000D690: D1000021 0092431F
	v_add_u32_e32 v224, 8, v224                                // 00000000D698: 69C1C088
	v_cmp_le_i32_e64 s[36:37], v225, v28                       // 00000000D69C: D0C30024 000239E1
	s_nop 0                                                    // 00000000D6A4: BF800000
	v_cndmask_b32_e64 v34, v31, v34, s[36:37]                  // 00000000D6A8: D1000022 0092451F
	v_add_u32_e32 v225, 8, v225                                // 00000000D6B0: 69C3C288
	v_cmp_le_i32_e64 s[36:37], v226, v28                       // 00000000D6B4: D0C30024 000239E2
	s_nop 0                                                    // 00000000D6BC: BF800000
	v_cndmask_b32_e64 v35, v31, v35, s[36:37]                  // 00000000D6C0: D1000023 0092471F
	v_add_u32_e32 v226, 8, v226                                // 00000000D6C8: 69C5C488
	v_cmp_le_i32_e64 s[36:37], v223, v28                       // 00000000D6CC: D0C30024 000239DF
	s_nop 0                                                    // 00000000D6D4: BF800000
	v_cndmask_b32_e64 v36, v31, v36, s[36:37]                  // 00000000D6D8: D1000024 0092491F
	v_add_u32_e32 v223, 8, v223                                // 00000000D6E0: 69BFBE88
	v_cmp_le_i32_e64 s[36:37], v224, v28                       // 00000000D6E4: D0C30024 000239E0
	s_nop 0                                                    // 00000000D6EC: BF800000
	v_cndmask_b32_e64 v37, v31, v37, s[36:37]                  // 00000000D6F0: D1000025 00924B1F
	v_add_u32_e32 v224, 8, v224                                // 00000000D6F8: 69C1C088
	v_cmp_le_i32_e64 s[36:37], v225, v28                       // 00000000D6FC: D0C30024 000239E1
	s_nop 0                                                    // 00000000D704: BF800000
	v_cndmask_b32_e64 v38, v31, v38, s[36:37]                  // 00000000D708: D1000026 00924D1F
	v_add_u32_e32 v225, 8, v225                                // 00000000D710: 69C3C288
	v_cmp_le_i32_e64 s[36:37], v226, v28                       // 00000000D714: D0C30024 000239E2
	s_nop 0                                                    // 00000000D71C: BF800000
	v_cndmask_b32_e64 v39, v31, v39, s[36:37]                  // 00000000D720: D1000027 00924F1F
	v_add_u32_e32 v226, 8, v226                                // 00000000D728: 69C5C488
	v_cmp_le_i32_e64 s[36:37], v223, v28                       // 00000000D72C: D0C30024 000239DF
	s_nop 0                                                    // 00000000D734: BF800000
	v_cndmask_b32_e64 v40, v31, v40, s[36:37]                  // 00000000D738: D1000028 0092511F
	v_add_u32_e32 v223, 8, v223                                // 00000000D740: 69BFBE88
	v_cmp_le_i32_e64 s[36:37], v224, v28                       // 00000000D744: D0C30024 000239E0
	s_nop 0                                                    // 00000000D74C: BF800000
	v_cndmask_b32_e64 v41, v31, v41, s[36:37]                  // 00000000D750: D1000029 0092531F
	v_add_u32_e32 v224, 8, v224                                // 00000000D758: 69C1C088
	v_cmp_le_i32_e64 s[36:37], v225, v28                       // 00000000D75C: D0C30024 000239E1
	s_nop 0                                                    // 00000000D764: BF800000
	v_cndmask_b32_e64 v42, v31, v42, s[36:37]                  // 00000000D768: D100002A 0092551F
	v_add_u32_e32 v225, 8, v225                                // 00000000D770: 69C3C288
	v_cmp_le_i32_e64 s[36:37], v226, v28                       // 00000000D774: D0C30024 000239E2
	s_nop 0                                                    // 00000000D77C: BF800000
	v_cndmask_b32_e64 v43, v31, v43, s[36:37]                  // 00000000D780: D100002B 0092571F
	v_add_u32_e32 v226, 8, v226                                // 00000000D788: 69C5C488
	v_cmp_le_i32_e64 s[36:37], v223, v28                       // 00000000D78C: D0C30024 000239DF
	s_nop 0                                                    // 00000000D794: BF800000
	v_cndmask_b32_e64 v44, v31, v44, s[36:37]                  // 00000000D798: D100002C 0092591F
	v_add_u32_e32 v223, 8, v223                                // 00000000D7A0: 69BFBE88
	v_cmp_le_i32_e64 s[36:37], v224, v28                       // 00000000D7A4: D0C30024 000239E0
	s_nop 0                                                    // 00000000D7AC: BF800000
	v_cndmask_b32_e64 v45, v31, v45, s[36:37]                  // 00000000D7B0: D100002D 00925B1F
	v_add_u32_e32 v224, 8, v224                                // 00000000D7B8: 69C1C088
	v_cmp_le_i32_e64 s[36:37], v225, v28                       // 00000000D7BC: D0C30024 000239E1
	s_nop 0                                                    // 00000000D7C4: BF800000
	v_cndmask_b32_e64 v46, v31, v46, s[36:37]                  // 00000000D7C8: D100002E 00925D1F
	v_add_u32_e32 v225, 8, v225                                // 00000000D7D0: 69C3C288
	v_cmp_le_i32_e64 s[36:37], v226, v28                       // 00000000D7D4: D0C30024 000239E2
	s_nop 0                                                    // 00000000D7DC: BF800000
	v_cndmask_b32_e64 v47, v31, v47, s[36:37]                  // 00000000D7E0: D100002F 00925F1F
	v_add_u32_e32 v226, 8, v226                                // 00000000D7E8: 69C5C488
	v_cmp_le_i32_e64 s[36:37], v223, v28                       // 00000000D7EC: D0C30024 000239DF
	s_nop 0                                                    // 00000000D7F4: BF800000
	v_cndmask_b32_e64 v48, v31, v48, s[36:37]                  // 00000000D7F8: D1000030 0092611F
	v_add_u32_e32 v223, 8, v223                                // 00000000D800: 69BFBE88
	v_cmp_le_i32_e64 s[36:37], v224, v28                       // 00000000D804: D0C30024 000239E0
	s_nop 0                                                    // 00000000D80C: BF800000
	v_cndmask_b32_e64 v49, v31, v49, s[36:37]                  // 00000000D810: D1000031 0092631F
	v_add_u32_e32 v224, 8, v224                                // 00000000D818: 69C1C088
	v_cmp_le_i32_e64 s[36:37], v225, v28                       // 00000000D81C: D0C30024 000239E1
	s_nop 0                                                    // 00000000D824: BF800000
	v_cndmask_b32_e64 v50, v31, v50, s[36:37]                  // 00000000D828: D1000032 0092651F
	v_add_u32_e32 v225, 8, v225                                // 00000000D830: 69C3C288
	v_cmp_le_i32_e64 s[36:37], v226, v28                       // 00000000D834: D0C30024 000239E2
	s_nop 0                                                    // 00000000D83C: BF800000
	v_cndmask_b32_e64 v51, v31, v51, s[36:37]                  // 00000000D840: D1000033 0092671F
	v_add_u32_e32 v226, 8, v226                                // 00000000D848: 69C5C488
	v_cmp_le_i32_e64 s[36:37], v223, v28                       // 00000000D84C: D0C30024 000239DF
	s_nop 0                                                    // 00000000D854: BF800000
	v_cndmask_b32_e64 v52, v31, v52, s[36:37]                  // 00000000D858: D1000034 0092691F
	v_add_u32_e32 v223, 8, v223                                // 00000000D860: 69BFBE88
	v_cmp_le_i32_e64 s[36:37], v224, v28                       // 00000000D864: D0C30024 000239E0
	s_nop 0                                                    // 00000000D86C: BF800000
	v_cndmask_b32_e64 v53, v31, v53, s[36:37]                  // 00000000D870: D1000035 00926B1F
	v_add_u32_e32 v224, 8, v224                                // 00000000D878: 69C1C088
	v_cmp_le_i32_e64 s[36:37], v225, v28                       // 00000000D87C: D0C30024 000239E1
	s_nop 0                                                    // 00000000D884: BF800000
	v_cndmask_b32_e64 v54, v31, v54, s[36:37]                  // 00000000D888: D1000036 00926D1F
	v_add_u32_e32 v225, 8, v225                                // 00000000D890: 69C3C288
	v_cmp_le_i32_e64 s[36:37], v226, v28                       // 00000000D894: D0C30024 000239E2
	s_nop 0                                                    // 00000000D89C: BF800000
	v_cndmask_b32_e64 v55, v31, v55, s[36:37]                  // 00000000D8A0: D1000037 00926F1F
	v_add_u32_e32 v226, 8, v226                                // 00000000D8A8: 69C5C488
	v_cmp_le_i32_e64 s[36:37], v223, v28                       // 00000000D8AC: D0C30024 000239DF
	s_nop 0                                                    // 00000000D8B4: BF800000
	v_cndmask_b32_e64 v56, v31, v56, s[36:37]                  // 00000000D8B8: D1000038 0092711F
	v_add_u32_e32 v223, 8, v223                                // 00000000D8C0: 69BFBE88
	v_cmp_le_i32_e64 s[36:37], v224, v28                       // 00000000D8C4: D0C30024 000239E0
	s_nop 0                                                    // 00000000D8CC: BF800000
	v_cndmask_b32_e64 v57, v31, v57, s[36:37]                  // 00000000D8D0: D1000039 0092731F
	v_add_u32_e32 v224, 8, v224                                // 00000000D8D8: 69C1C088
	v_cmp_le_i32_e64 s[36:37], v225, v28                       // 00000000D8DC: D0C30024 000239E1
	s_nop 0                                                    // 00000000D8E4: BF800000
	v_cndmask_b32_e64 v58, v31, v58, s[36:37]                  // 00000000D8E8: D100003A 0092751F
	v_add_u32_e32 v225, 8, v225                                // 00000000D8F0: 69C3C288
	v_cmp_le_i32_e64 s[36:37], v226, v28                       // 00000000D8F4: D0C30024 000239E2
	s_nop 0                                                    // 00000000D8FC: BF800000
	v_cndmask_b32_e64 v59, v31, v59, s[36:37]                  // 00000000D900: D100003B 0092771F
	v_add_u32_e32 v226, 8, v226                                // 00000000D908: 69C5C488
	v_cmp_le_i32_e64 s[36:37], v223, v28                       // 00000000D90C: D0C30024 000239DF
	s_nop 0                                                    // 00000000D914: BF800000
	v_cndmask_b32_e64 v60, v31, v60, s[36:37]                  // 00000000D918: D100003C 0092791F
	v_add_u32_e32 v223, 8, v223                                // 00000000D920: 69BFBE88
	v_cmp_le_i32_e64 s[36:37], v224, v28                       // 00000000D924: D0C30024 000239E0
	s_nop 0                                                    // 00000000D92C: BF800000
	v_cndmask_b32_e64 v61, v31, v61, s[36:37]                  // 00000000D930: D100003D 00927B1F
	v_add_u32_e32 v224, 8, v224                                // 00000000D938: 69C1C088
	v_cmp_le_i32_e64 s[36:37], v225, v28                       // 00000000D93C: D0C30024 000239E1
	s_nop 0                                                    // 00000000D944: BF800000
	v_cndmask_b32_e64 v62, v31, v62, s[36:37]                  // 00000000D948: D100003E 00927D1F
	v_add_u32_e32 v225, 8, v225                                // 00000000D950: 69C3C288
	v_cmp_le_i32_e64 s[36:37], v226, v28                       // 00000000D954: D0C30024 000239E2
	s_nop 0                                                    // 00000000D95C: BF800000
	v_cndmask_b32_e64 v63, v31, v63, s[36:37]                  // 00000000D960: D100003F 00927F1F
	v_add_u32_e32 v226, 8, v226                                // 00000000D968: 69C5C488

000000000000d96c <label_B56C>:
	s_add_u32 s83, s84, s83                                    // 00000000D96C: 80535354
	s_nop 2                                                    // 00000000D970: BF800002
	v_mov_b32_e32 v29, v32                                     // 00000000D974: 7E3A0320
	v_max3_f32 v29, v32, v33, v29                              // 00000000D978: D1D3001D 04764320
	v_max3_f32 v29, v34, v35, v29                              // 00000000D980: D1D3001D 04764722
	v_max3_f32 v29, v36, v37, v29                              // 00000000D988: D1D3001D 04764B24
	v_max3_f32 v29, v38, v39, v29                              // 00000000D990: D1D3001D 04764F26
	v_max3_f32 v29, v40, v41, v29                              // 00000000D998: D1D3001D 04765328
	v_max3_f32 v29, v42, v43, v29                              // 00000000D9A0: D1D3001D 0476572A
	v_max3_f32 v29, v44, v45, v29                              // 00000000D9A8: D1D3001D 04765B2C
	v_max3_f32 v29, v46, v47, v29                              // 00000000D9B0: D1D3001D 04765F2E
	v_max3_f32 v29, v48, v49, v29                              // 00000000D9B8: D1D3001D 04766330
	v_max3_f32 v29, v50, v51, v29                              // 00000000D9C0: D1D3001D 04766732
	v_max3_f32 v29, v52, v53, v29                              // 00000000D9C8: D1D3001D 04766B34
	v_max3_f32 v29, v54, v55, v29                              // 00000000D9D0: D1D3001D 04766F36
	v_max3_f32 v29, v56, v57, v29                              // 00000000D9D8: D1D3001D 04767338
	v_max3_f32 v29, v58, v59, v29                              // 00000000D9E0: D1D3001D 0476773A
	v_max3_f32 v29, v60, v61, v29                              // 00000000D9E8: D1D3001D 04767B3C
	v_max3_f32 v29, v62, v63, v29                              // 00000000D9F0: D1D3001D 04767F3E
	v_mov_b32_e32 v28, v29                                     // 00000000D9F8: 7E38031D
	v_mov_b32_e32 v29, v29                                     // 00000000D9FC: 7E3A031D
	s_nop 1                                                    // 00000000DA00: BF800001
	v_permlane32_swap_b32_e32 v28, v29                         // 00000000DA04: 7E38B51D
	v_max3_f32 v29, v28, v29, v29                              // 00000000DA08: D1D3001D 04763B1C
	v_mov_b32_e32 v28, 0xff800000                              // 00000000DA10: 7E3802FF FF800000
	v_cmp_eq_u32_e64 s[36:37], v28, v2                         // 00000000DA18: D0CA0024 0002051C
	v_max_f32_e32 v29, v29, v2                                 // 00000000DA20: 163A051D
	v_sub_f32_e32 v17, v2, v29                                 // 00000000DA24: 04223B02
	v_cndmask_b32_e64 v17, v17, 0, s[36:37]                    // 00000000DA28: D1000011 00910111
	v_mov_b32_e32 v2, v29                                      // 00000000DA30: 7E04031D
	v_mul_f32_e32 v29, s5, v29                                 // 00000000DA34: 0A3A3A05
	v_mul_f32_e32 v17, s5, v17                                 // 00000000DA38: 0A222205
	v_exp_f32_e32 v17, v17                                     // 00000000DA3C: 7E224111
	v_fma_f32 v32, v32, s5, -v29                               // 00000000DA40: D1CB0020 84740B20
	v_fma_f32 v33, v33, s5, -v29                               // 00000000DA48: D1CB0021 84740B21
	v_fma_f32 v34, v34, s5, -v29                               // 00000000DA50: D1CB0022 84740B22
	v_fma_f32 v35, v35, s5, -v29                               // 00000000DA58: D1CB0023 84740B23
	v_fma_f32 v36, v36, s5, -v29                               // 00000000DA60: D1CB0024 84740B24
	v_fma_f32 v37, v37, s5, -v29                               // 00000000DA68: D1CB0025 84740B25
	v_fma_f32 v38, v38, s5, -v29                               // 00000000DA70: D1CB0026 84740B26
	v_fma_f32 v39, v39, s5, -v29                               // 00000000DA78: D1CB0027 84740B27
	v_fma_f32 v40, v40, s5, -v29                               // 00000000DA80: D1CB0028 84740B28
	v_fma_f32 v41, v41, s5, -v29                               // 00000000DA88: D1CB0029 84740B29
	v_fma_f32 v42, v42, s5, -v29                               // 00000000DA90: D1CB002A 84740B2A
	v_fma_f32 v43, v43, s5, -v29                               // 00000000DA98: D1CB002B 84740B2B
	v_fma_f32 v44, v44, s5, -v29                               // 00000000DAA0: D1CB002C 84740B2C
	v_fma_f32 v45, v45, s5, -v29                               // 00000000DAA8: D1CB002D 84740B2D
	v_fma_f32 v46, v46, s5, -v29                               // 00000000DAB0: D1CB002E 84740B2E
	v_fma_f32 v47, v47, s5, -v29                               // 00000000DAB8: D1CB002F 84740B2F
	v_fma_f32 v48, v48, s5, -v29                               // 00000000DAC0: D1CB0030 84740B30
	v_fma_f32 v49, v49, s5, -v29                               // 00000000DAC8: D1CB0031 84740B31
	v_fma_f32 v50, v50, s5, -v29                               // 00000000DAD0: D1CB0032 84740B32
	v_fma_f32 v51, v51, s5, -v29                               // 00000000DAD8: D1CB0033 84740B33
	v_fma_f32 v52, v52, s5, -v29                               // 00000000DAE0: D1CB0034 84740B34
	v_fma_f32 v53, v53, s5, -v29                               // 00000000DAE8: D1CB0035 84740B35
	v_fma_f32 v54, v54, s5, -v29                               // 00000000DAF0: D1CB0036 84740B36
	v_fma_f32 v55, v55, s5, -v29                               // 00000000DAF8: D1CB0037 84740B37
	v_fma_f32 v56, v56, s5, -v29                               // 00000000DB00: D1CB0038 84740B38
	v_fma_f32 v57, v57, s5, -v29                               // 00000000DB08: D1CB0039 84740B39
	v_fma_f32 v58, v58, s5, -v29                               // 00000000DB10: D1CB003A 84740B3A
	v_fma_f32 v59, v59, s5, -v29                               // 00000000DB18: D1CB003B 84740B3B
	v_fma_f32 v60, v60, s5, -v29                               // 00000000DB20: D1CB003C 84740B3C
	v_fma_f32 v61, v61, s5, -v29                               // 00000000DB28: D1CB003D 84740B3D
	v_fma_f32 v62, v62, s5, -v29                               // 00000000DB30: D1CB003E 84740B3E
	v_fma_f32 v63, v63, s5, -v29                               // 00000000DB38: D1CB003F 84740B3F
	v_exp_f32_e32 v32, v32                                     // 00000000DB40: 7E404120
	v_exp_f32_e32 v33, v33                                     // 00000000DB44: 7E424121
	v_exp_f32_e32 v34, v34                                     // 00000000DB48: 7E444122
	v_exp_f32_e32 v35, v35                                     // 00000000DB4C: 7E464123
	v_exp_f32_e32 v36, v36                                     // 00000000DB50: 7E484124
	v_exp_f32_e32 v37, v37                                     // 00000000DB54: 7E4A4125
	v_exp_f32_e32 v38, v38                                     // 00000000DB58: 7E4C4126
	v_exp_f32_e32 v39, v39                                     // 00000000DB5C: 7E4E4127
	v_exp_f32_e32 v40, v40                                     // 00000000DB60: 7E504128
	v_exp_f32_e32 v41, v41                                     // 00000000DB64: 7E524129
	v_exp_f32_e32 v42, v42                                     // 00000000DB68: 7E54412A
	v_exp_f32_e32 v43, v43                                     // 00000000DB6C: 7E56412B
	v_exp_f32_e32 v44, v44                                     // 00000000DB70: 7E58412C
	v_exp_f32_e32 v45, v45                                     // 00000000DB74: 7E5A412D
	v_exp_f32_e32 v46, v46                                     // 00000000DB78: 7E5C412E
	v_exp_f32_e32 v47, v47                                     // 00000000DB7C: 7E5E412F
	v_exp_f32_e32 v48, v48                                     // 00000000DB80: 7E604130
	v_exp_f32_e32 v49, v49                                     // 00000000DB84: 7E624131
	v_exp_f32_e32 v50, v50                                     // 00000000DB88: 7E644132
	v_exp_f32_e32 v51, v51                                     // 00000000DB8C: 7E664133
	v_exp_f32_e32 v52, v52                                     // 00000000DB90: 7E684134
	v_exp_f32_e32 v53, v53                                     // 00000000DB94: 7E6A4135
	v_exp_f32_e32 v54, v54                                     // 00000000DB98: 7E6C4136
	v_exp_f32_e32 v55, v55                                     // 00000000DB9C: 7E6E4137
	v_exp_f32_e32 v56, v56                                     // 00000000DBA0: 7E704138
	v_exp_f32_e32 v57, v57                                     // 00000000DBA4: 7E724139
	v_exp_f32_e32 v58, v58                                     // 00000000DBA8: 7E74413A
	v_exp_f32_e32 v59, v59                                     // 00000000DBAC: 7E76413B
	v_exp_f32_e32 v60, v60                                     // 00000000DBB0: 7E78413C
	v_exp_f32_e32 v61, v61                                     // 00000000DBB4: 7E7A413D
	v_exp_f32_e32 v62, v62                                     // 00000000DBB8: 7E7C413E
	v_exp_f32_e32 v63, v63                                     // 00000000DBBC: 7E7E413F
	v_mul_f32_e32 v4, v17, v4                                  // 00000000DBC0: 0A080911
	v_mov_b32_e32 v28, v32                                     // 00000000DBC4: 7E380320
	v_add_f32_e32 v28, v33, v28                                // 00000000DBC8: 02383921
	v_add_f32_e32 v28, v34, v28                                // 00000000DBCC: 02383922
	v_add_f32_e32 v28, v35, v28                                // 00000000DBD0: 02383923
	v_add_f32_e32 v28, v36, v28                                // 00000000DBD4: 02383924
	v_add_f32_e32 v28, v37, v28                                // 00000000DBD8: 02383925
	v_add_f32_e32 v28, v38, v28                                // 00000000DBDC: 02383926
	v_add_f32_e32 v28, v39, v28                                // 00000000DBE0: 02383927
	v_add_f32_e32 v28, v40, v28                                // 00000000DBE4: 02383928
	v_add_f32_e32 v28, v41, v28                                // 00000000DBE8: 02383929
	v_add_f32_e32 v28, v42, v28                                // 00000000DBEC: 0238392A
	v_add_f32_e32 v28, v43, v28                                // 00000000DBF0: 0238392B
	v_add_f32_e32 v28, v44, v28                                // 00000000DBF4: 0238392C
	v_add_f32_e32 v28, v45, v28                                // 00000000DBF8: 0238392D
	v_add_f32_e32 v28, v46, v28                                // 00000000DBFC: 0238392E
	v_add_f32_e32 v28, v47, v28                                // 00000000DC00: 0238392F
	v_add_f32_e32 v28, v48, v28                                // 00000000DC04: 02383930
	v_add_f32_e32 v28, v49, v28                                // 00000000DC08: 02383931
	v_add_f32_e32 v28, v50, v28                                // 00000000DC0C: 02383932
	v_add_f32_e32 v28, v51, v28                                // 00000000DC10: 02383933
	v_add_f32_e32 v28, v52, v28                                // 00000000DC14: 02383934
	v_add_f32_e32 v28, v53, v28                                // 00000000DC18: 02383935
	v_add_f32_e32 v28, v54, v28                                // 00000000DC1C: 02383936
	v_add_f32_e32 v28, v55, v28                                // 00000000DC20: 02383937
	v_add_f32_e32 v28, v56, v28                                // 00000000DC24: 02383938
	v_add_f32_e32 v28, v57, v28                                // 00000000DC28: 02383939
	v_add_f32_e32 v28, v58, v28                                // 00000000DC2C: 0238393A
	v_add_f32_e32 v28, v59, v28                                // 00000000DC30: 0238393B
	v_add_f32_e32 v28, v60, v28                                // 00000000DC34: 0238393C
	v_add_f32_e32 v28, v61, v28                                // 00000000DC38: 0238393D
	v_add_f32_e32 v28, v62, v28                                // 00000000DC3C: 0238393E
	v_add_f32_e32 v28, v63, v28                                // 00000000DC40: 0238393F
	v_add_f32_e32 v4, v28, v4                                  // 00000000DC44: 0208091C
	v_cvt_pk_fp8_f32 v32, v32, v33                             // 00000000DC48: D2A20020 00024320
	v_cvt_pk_fp8_f32 v32, v34, v35 op_sel:[0,0,1]              // 00000000DC50: D2A24020 00024722
	v_cvt_pk_fp8_f32 v33, v36, v37                             // 00000000DC58: D2A20021 00024B24
	v_cvt_pk_fp8_f32 v33, v38, v39 op_sel:[0,0,1]              // 00000000DC60: D2A24021 00024F26
	v_cvt_pk_fp8_f32 v34, v40, v41                             // 00000000DC68: D2A20022 00025328
	v_cvt_pk_fp8_f32 v34, v42, v43 op_sel:[0,0,1]              // 00000000DC70: D2A24022 0002572A
	v_cvt_pk_fp8_f32 v35, v44, v45                             // 00000000DC78: D2A20023 00025B2C
	v_cvt_pk_fp8_f32 v35, v46, v47 op_sel:[0,0,1]              // 00000000DC80: D2A24023 00025F2E
	v_cvt_pk_fp8_f32 v36, v48, v49                             // 00000000DC88: D2A20024 00026330
	v_cvt_pk_fp8_f32 v36, v50, v51 op_sel:[0,0,1]              // 00000000DC90: D2A24024 00026732
	v_cvt_pk_fp8_f32 v37, v52, v53                             // 00000000DC98: D2A20025 00026B34
	v_cvt_pk_fp8_f32 v37, v54, v55 op_sel:[0,0,1]              // 00000000DCA0: D2A24025 00026F36
	v_cvt_pk_fp8_f32 v38, v56, v57                             // 00000000DCA8: D2A20026 00027338
	v_cvt_pk_fp8_f32 v38, v58, v59 op_sel:[0,0,1]              // 00000000DCB0: D2A24026 0002773A
	v_cvt_pk_fp8_f32 v39, v60, v61                             // 00000000DCB8: D2A20027 00027B3C
	v_cvt_pk_fp8_f32 v39, v62, v63 op_sel:[0,0,1]              // 00000000DCC0: D2A24027 00027F3E
	v_permlane32_swap_b32_e32 v32, v34                         // 00000000DCC8: 7E40B522
	v_permlane32_swap_b32_e32 v33, v35                         // 00000000DCCC: 7E42B523
	v_swap_b32 v33, v34                                        // 00000000DCD0: 7E42A322
	v_permlane32_swap_b32_e32 v36, v38                         // 00000000DCD4: 7E48B526
	v_permlane32_swap_b32_e32 v37, v39                         // 00000000DCD8: 7E4AB527
	v_swap_b32 v37, v38                                        // 00000000DCDC: 7E4AA326
	v_mov_b32_e32 v28, v17                                     // 00000000DCE0: 7E380311
	v_mul_f32_e32 v64, v28, v64                                // 00000000DCE4: 0A80811C
	v_mul_f32_e32 v65, v28, v65                                // 00000000DCE8: 0A82831C
	v_mul_f32_e32 v66, v28, v66                                // 00000000DCEC: 0A84851C
	v_mul_f32_e32 v67, v28, v67                                // 00000000DCF0: 0A86871C
	v_mul_f32_e32 v68, v28, v68                                // 00000000DCF4: 0A88891C
	v_mul_f32_e32 v69, v28, v69                                // 00000000DCF8: 0A8A8B1C
	v_mul_f32_e32 v70, v28, v70                                // 00000000DCFC: 0A8C8D1C
	v_mul_f32_e32 v71, v28, v71                                // 00000000DD00: 0A8E8F1C
	v_mul_f32_e32 v72, v28, v72                                // 00000000DD04: 0A90911C
	v_mul_f32_e32 v73, v28, v73                                // 00000000DD08: 0A92931C
	v_mul_f32_e32 v74, v28, v74                                // 00000000DD0C: 0A94951C
	v_mul_f32_e32 v75, v28, v75                                // 00000000DD10: 0A96971C
	v_mul_f32_e32 v76, v28, v76                                // 00000000DD14: 0A98991C
	v_mul_f32_e32 v77, v28, v77                                // 00000000DD18: 0A9A9B1C
	v_mul_f32_e32 v78, v28, v78                                // 00000000DD1C: 0A9C9D1C
	v_mul_f32_e32 v79, v28, v79                                // 00000000DD20: 0A9E9F1C
	v_mul_f32_e32 v80, v28, v80                                // 00000000DD24: 0AA0A11C
	v_mul_f32_e32 v81, v28, v81                                // 00000000DD28: 0AA2A31C
	v_mul_f32_e32 v82, v28, v82                                // 00000000DD2C: 0AA4A51C
	v_mul_f32_e32 v83, v28, v83                                // 00000000DD30: 0AA6A71C
	v_mul_f32_e32 v84, v28, v84                                // 00000000DD34: 0AA8A91C
	v_mul_f32_e32 v85, v28, v85                                // 00000000DD38: 0AAAAB1C
	v_mul_f32_e32 v86, v28, v86                                // 00000000DD3C: 0AACAD1C
	v_mul_f32_e32 v87, v28, v87                                // 00000000DD40: 0AAEAF1C
	v_mul_f32_e32 v88, v28, v88                                // 00000000DD44: 0AB0B11C
	v_mul_f32_e32 v89, v28, v89                                // 00000000DD48: 0AB2B31C
	v_mul_f32_e32 v90, v28, v90                                // 00000000DD4C: 0AB4B51C
	v_mul_f32_e32 v91, v28, v91                                // 00000000DD50: 0AB6B71C
	v_mul_f32_e32 v92, v28, v92                                // 00000000DD54: 0AB8B91C
	v_mul_f32_e32 v93, v28, v93                                // 00000000DD58: 0ABABB1C
	v_mul_f32_e32 v94, v28, v94                                // 00000000DD5C: 0ABCBD1C
	v_mul_f32_e32 v95, v28, v95                                // 00000000DD60: 0ABEBF1C
	v_mul_f32_e32 v96, v28, v96                                // 00000000DD64: 0AC0C11C
	v_mul_f32_e32 v97, v28, v97                                // 00000000DD68: 0AC2C31C
	v_mul_f32_e32 v98, v28, v98                                // 00000000DD6C: 0AC4C51C
	v_mul_f32_e32 v99, v28, v99                                // 00000000DD70: 0AC6C71C
	v_mul_f32_e32 v100, v28, v100                              // 00000000DD74: 0AC8C91C
	v_mul_f32_e32 v101, v28, v101                              // 00000000DD78: 0ACACB1C
	v_mul_f32_e32 v102, v28, v102                              // 00000000DD7C: 0ACCCD1C
	v_mul_f32_e32 v103, v28, v103                              // 00000000DD80: 0ACECF1C
	v_mul_f32_e32 v104, v28, v104                              // 00000000DD84: 0AD0D11C
	v_mul_f32_e32 v105, v28, v105                              // 00000000DD88: 0AD2D31C
	v_mul_f32_e32 v106, v28, v106                              // 00000000DD8C: 0AD4D51C
	v_mul_f32_e32 v107, v28, v107                              // 00000000DD90: 0AD6D71C
	v_mul_f32_e32 v108, v28, v108                              // 00000000DD94: 0AD8D91C
	v_mul_f32_e32 v109, v28, v109                              // 00000000DD98: 0ADADB1C
	v_mul_f32_e32 v110, v28, v110                              // 00000000DD9C: 0ADCDD1C
	v_mul_f32_e32 v111, v28, v111                              // 00000000DDA0: 0ADEDF1C
	v_mul_f32_e32 v112, v28, v112                              // 00000000DDA4: 0AE0E11C
	v_mul_f32_e32 v113, v28, v113                              // 00000000DDA8: 0AE2E31C
	v_mul_f32_e32 v114, v28, v114                              // 00000000DDAC: 0AE4E51C
	v_mul_f32_e32 v115, v28, v115                              // 00000000DDB0: 0AE6E71C
	v_mul_f32_e32 v116, v28, v116                              // 00000000DDB4: 0AE8E91C
	v_mul_f32_e32 v117, v28, v117                              // 00000000DDB8: 0AEAEB1C
	v_mul_f32_e32 v118, v28, v118                              // 00000000DDBC: 0AECED1C
	v_mul_f32_e32 v119, v28, v119                              // 00000000DDC0: 0AEEEF1C
	v_mul_f32_e32 v120, v28, v120                              // 00000000DDC4: 0AF0F11C
	v_mul_f32_e32 v121, v28, v121                              // 00000000DDC8: 0AF2F31C
	v_mul_f32_e32 v122, v28, v122                              // 00000000DDCC: 0AF4F51C
	v_mul_f32_e32 v123, v28, v123                              // 00000000DDD0: 0AF6F71C
	v_mul_f32_e32 v124, v28, v124                              // 00000000DDD4: 0AF8F91C
	v_mul_f32_e32 v125, v28, v125                              // 00000000DDD8: 0AFAFB1C
	v_mul_f32_e32 v126, v28, v126                              // 00000000DDDC: 0AFCFD1C
	v_mul_f32_e32 v127, v28, v127                              // 00000000DDE0: 0AFEFF1C
	v_mul_f32_e32 v128, v28, v128                              // 00000000DDE4: 0B01011C
	v_mul_f32_e32 v129, v28, v129                              // 00000000DDE8: 0B03031C
	v_mul_f32_e32 v130, v28, v130                              // 00000000DDEC: 0B05051C
	v_mul_f32_e32 v131, v28, v131                              // 00000000DDF0: 0B07071C
	v_mul_f32_e32 v132, v28, v132                              // 00000000DDF4: 0B09091C
	v_mul_f32_e32 v133, v28, v133                              // 00000000DDF8: 0B0B0B1C
	v_mul_f32_e32 v134, v28, v134                              // 00000000DDFC: 0B0D0D1C
	v_mul_f32_e32 v135, v28, v135                              // 00000000DE00: 0B0F0F1C
	v_mul_f32_e32 v136, v28, v136                              // 00000000DE04: 0B11111C
	v_mul_f32_e32 v137, v28, v137                              // 00000000DE08: 0B13131C
	v_mul_f32_e32 v138, v28, v138                              // 00000000DE0C: 0B15151C
	v_mul_f32_e32 v139, v28, v139                              // 00000000DE10: 0B17171C
	v_mul_f32_e32 v140, v28, v140                              // 00000000DE14: 0B19191C
	v_mul_f32_e32 v141, v28, v141                              // 00000000DE18: 0B1B1B1C
	v_mul_f32_e32 v142, v28, v142                              // 00000000DE1C: 0B1D1D1C
	v_mul_f32_e32 v143, v28, v143                              // 00000000DE20: 0B1F1F1C
	v_mul_f32_e32 v144, v28, v144                              // 00000000DE24: 0B21211C
	v_mul_f32_e32 v145, v28, v145                              // 00000000DE28: 0B23231C
	v_mul_f32_e32 v146, v28, v146                              // 00000000DE2C: 0B25251C
	v_mul_f32_e32 v147, v28, v147                              // 00000000DE30: 0B27271C
	v_mul_f32_e32 v148, v28, v148                              // 00000000DE34: 0B29291C
	v_mul_f32_e32 v149, v28, v149                              // 00000000DE38: 0B2B2B1C
	v_mul_f32_e32 v150, v28, v150                              // 00000000DE3C: 0B2D2D1C
	v_mul_f32_e32 v151, v28, v151                              // 00000000DE40: 0B2F2F1C
	v_mul_f32_e32 v152, v28, v152                              // 00000000DE44: 0B31311C
	v_mul_f32_e32 v153, v28, v153                              // 00000000DE48: 0B33331C
	v_mul_f32_e32 v154, v28, v154                              // 00000000DE4C: 0B35351C
	v_mul_f32_e32 v155, v28, v155                              // 00000000DE50: 0B37371C
	v_mul_f32_e32 v156, v28, v156                              // 00000000DE54: 0B39391C
	v_mul_f32_e32 v157, v28, v157                              // 00000000DE58: 0B3B3B1C
	v_mul_f32_e32 v158, v28, v158                              // 00000000DE5C: 0B3D3D1C
	v_mul_f32_e32 v159, v28, v159                              // 00000000DE60: 0B3F3F1C
	v_mul_f32_e32 v160, v28, v160                              // 00000000DE64: 0B41411C
	v_mul_f32_e32 v161, v28, v161                              // 00000000DE68: 0B43431C
	v_mul_f32_e32 v162, v28, v162                              // 00000000DE6C: 0B45451C
	v_mul_f32_e32 v163, v28, v163                              // 00000000DE70: 0B47471C
	v_mul_f32_e32 v164, v28, v164                              // 00000000DE74: 0B49491C
	v_mul_f32_e32 v165, v28, v165                              // 00000000DE78: 0B4B4B1C
	v_mul_f32_e32 v166, v28, v166                              // 00000000DE7C: 0B4D4D1C
	v_mul_f32_e32 v167, v28, v167                              // 00000000DE80: 0B4F4F1C
	v_mul_f32_e32 v168, v28, v168                              // 00000000DE84: 0B51511C
	v_mul_f32_e32 v169, v28, v169                              // 00000000DE88: 0B53531C
	v_mul_f32_e32 v170, v28, v170                              // 00000000DE8C: 0B55551C
	v_mul_f32_e32 v171, v28, v171                              // 00000000DE90: 0B57571C
	v_mul_f32_e32 v172, v28, v172                              // 00000000DE94: 0B59591C
	v_mul_f32_e32 v173, v28, v173                              // 00000000DE98: 0B5B5B1C
	v_mul_f32_e32 v174, v28, v174                              // 00000000DE9C: 0B5D5D1C
	v_mul_f32_e32 v175, v28, v175                              // 00000000DEA0: 0B5F5F1C
	v_mul_f32_e32 v176, v28, v176                              // 00000000DEA4: 0B61611C
	v_mul_f32_e32 v177, v28, v177                              // 00000000DEA8: 0B63631C
	v_mul_f32_e32 v178, v28, v178                              // 00000000DEAC: 0B65651C
	v_mul_f32_e32 v179, v28, v179                              // 00000000DEB0: 0B67671C
	v_mul_f32_e32 v180, v28, v180                              // 00000000DEB4: 0B69691C
	v_mul_f32_e32 v181, v28, v181                              // 00000000DEB8: 0B6B6B1C
	v_mul_f32_e32 v182, v28, v182                              // 00000000DEBC: 0B6D6D1C
	v_mul_f32_e32 v183, v28, v183                              // 00000000DEC0: 0B6F6F1C
	v_mul_f32_e32 v184, v28, v184                              // 00000000DEC4: 0B71711C
	v_mul_f32_e32 v185, v28, v185                              // 00000000DEC8: 0B73731C
	v_mul_f32_e32 v186, v28, v186                              // 00000000DECC: 0B75751C
	v_mul_f32_e32 v187, v28, v187                              // 00000000DED0: 0B77771C
	v_mul_f32_e32 v188, v28, v188                              // 00000000DED4: 0B79791C
	v_mul_f32_e32 v189, v28, v189                              // 00000000DED8: 0B7B7B1C
	v_mul_f32_e32 v190, v28, v190                              // 00000000DEDC: 0B7D7D1C
	v_mul_f32_e32 v191, v28, v191                              // 00000000DEE0: 0B7F7F1C
	v_mul_f32_e32 v192, v28, v192                              // 00000000DEE4: 0B81811C
	v_mul_f32_e32 v193, v28, v193                              // 00000000DEE8: 0B83831C
	v_mul_f32_e32 v194, v28, v194                              // 00000000DEEC: 0B85851C
	v_mul_f32_e32 v195, v28, v195                              // 00000000DEF0: 0B87871C
	v_mul_f32_e32 v196, v28, v196                              // 00000000DEF4: 0B89891C
	v_mul_f32_e32 v197, v28, v197                              // 00000000DEF8: 0B8B8B1C
	v_mul_f32_e32 v198, v28, v198                              // 00000000DEFC: 0B8D8D1C
	v_mul_f32_e32 v199, v28, v199                              // 00000000DF00: 0B8F8F1C
	v_mul_f32_e32 v200, v28, v200                              // 00000000DF04: 0B91911C
	v_mul_f32_e32 v201, v28, v201                              // 00000000DF08: 0B93931C
	v_mul_f32_e32 v202, v28, v202                              // 00000000DF0C: 0B95951C
	v_mul_f32_e32 v203, v28, v203                              // 00000000DF10: 0B97971C
	v_mul_f32_e32 v204, v28, v204                              // 00000000DF14: 0B99991C
	v_mul_f32_e32 v205, v28, v205                              // 00000000DF18: 0B9B9B1C
	v_mul_f32_e32 v206, v28, v206                              // 00000000DF1C: 0B9D9D1C
	v_mul_f32_e32 v207, v28, v207                              // 00000000DF20: 0B9F9F1C
	v_mul_f32_e32 v208, v28, v208                              // 00000000DF24: 0BA1A11C
	v_mul_f32_e32 v209, v28, v209                              // 00000000DF28: 0BA3A31C
	v_mul_f32_e32 v210, v28, v210                              // 00000000DF2C: 0BA5A51C
	v_mul_f32_e32 v211, v28, v211                              // 00000000DF30: 0BA7A71C
	v_mul_f32_e32 v212, v28, v212                              // 00000000DF34: 0BA9A91C
	v_mul_f32_e32 v213, v28, v213                              // 00000000DF38: 0BABAB1C
	v_mul_f32_e32 v214, v28, v214                              // 00000000DF3C: 0BADAD1C
	v_mul_f32_e32 v215, v28, v215                              // 00000000DF40: 0BAFAF1C
	v_mul_f32_e32 v216, v28, v216                              // 00000000DF44: 0BB1B11C
	v_mul_f32_e32 v217, v28, v217                              // 00000000DF48: 0BB3B31C
	v_mul_f32_e32 v218, v28, v218                              // 00000000DF4C: 0BB5B51C
	v_mul_f32_e32 v219, v28, v219                              // 00000000DF50: 0BB7B71C
	v_mul_f32_e32 v220, v28, v220                              // 00000000DF54: 0BB9B91C
	v_mul_f32_e32 v221, v28, v221                              // 00000000DF58: 0BBBBB1C
	v_mul_f32_e32 v222, v28, v222                              // 00000000DF5C: 0BBDBD1C
	v_mul_f32_e32 v223, v28, v223                              // 00000000DF60: 0BBFBF1C
	v_accvgpr_read_b32 v29, a144                               // 00000000DF64: D3D8401D 18000190
	v_mul_f32_e32 v29, v28, v29                                // 00000000DF6C: 0A3A3B1C
	v_accvgpr_write_b32 a144, v29                              // 00000000DF70: D3D94090 1800011D
	v_accvgpr_read_b32 v29, a145                               // 00000000DF78: D3D8401D 18000191
	v_mul_f32_e32 v29, v28, v29                                // 00000000DF80: 0A3A3B1C
	v_accvgpr_write_b32 a145, v29                              // 00000000DF84: D3D94091 1800011D
	v_accvgpr_read_b32 v29, a146                               // 00000000DF8C: D3D8401D 18000192
	v_mul_f32_e32 v29, v28, v29                                // 00000000DF94: 0A3A3B1C
	v_accvgpr_write_b32 a146, v29                              // 00000000DF98: D3D94092 1800011D
	v_accvgpr_read_b32 v29, a147                               // 00000000DFA0: D3D8401D 18000193
	v_mul_f32_e32 v29, v28, v29                                // 00000000DFA8: 0A3A3B1C
	v_accvgpr_write_b32 a147, v29                              // 00000000DFAC: D3D94093 1800011D
	v_accvgpr_read_b32 v29, a148                               // 00000000DFB4: D3D8401D 18000194
	v_mul_f32_e32 v29, v28, v29                                // 00000000DFBC: 0A3A3B1C
	v_accvgpr_write_b32 a148, v29                              // 00000000DFC0: D3D94094 1800011D
	v_accvgpr_read_b32 v29, a149                               // 00000000DFC8: D3D8401D 18000195
	v_mul_f32_e32 v29, v28, v29                                // 00000000DFD0: 0A3A3B1C
	v_accvgpr_write_b32 a149, v29                              // 00000000DFD4: D3D94095 1800011D
	v_accvgpr_read_b32 v29, a150                               // 00000000DFDC: D3D8401D 18000196
	v_mul_f32_e32 v29, v28, v29                                // 00000000DFE4: 0A3A3B1C
	v_accvgpr_write_b32 a150, v29                              // 00000000DFE8: D3D94096 1800011D
	v_accvgpr_read_b32 v29, a151                               // 00000000DFF0: D3D8401D 18000197
	v_mul_f32_e32 v29, v28, v29                                // 00000000DFF8: 0A3A3B1C
	v_accvgpr_write_b32 a151, v29                              // 00000000DFFC: D3D94097 1800011D
	v_accvgpr_read_b32 v29, a152                               // 00000000E004: D3D8401D 18000198
	v_mul_f32_e32 v29, v28, v29                                // 00000000E00C: 0A3A3B1C
	v_accvgpr_write_b32 a152, v29                              // 00000000E010: D3D94098 1800011D
	v_accvgpr_read_b32 v29, a153                               // 00000000E018: D3D8401D 18000199
	v_mul_f32_e32 v29, v28, v29                                // 00000000E020: 0A3A3B1C
	v_accvgpr_write_b32 a153, v29                              // 00000000E024: D3D94099 1800011D
	v_accvgpr_read_b32 v29, a154                               // 00000000E02C: D3D8401D 1800019A
	v_mul_f32_e32 v29, v28, v29                                // 00000000E034: 0A3A3B1C
	v_accvgpr_write_b32 a154, v29                              // 00000000E038: D3D9409A 1800011D
	v_accvgpr_read_b32 v29, a155                               // 00000000E040: D3D8401D 1800019B
	v_mul_f32_e32 v29, v28, v29                                // 00000000E048: 0A3A3B1C
	v_accvgpr_write_b32 a155, v29                              // 00000000E04C: D3D9409B 1800011D
	v_accvgpr_read_b32 v29, a156                               // 00000000E054: D3D8401D 1800019C
	v_mul_f32_e32 v29, v28, v29                                // 00000000E05C: 0A3A3B1C
	v_accvgpr_write_b32 a156, v29                              // 00000000E060: D3D9409C 1800011D
	v_accvgpr_read_b32 v29, a157                               // 00000000E068: D3D8401D 1800019D
	v_mul_f32_e32 v29, v28, v29                                // 00000000E070: 0A3A3B1C
	v_accvgpr_write_b32 a157, v29                              // 00000000E074: D3D9409D 1800011D
	v_accvgpr_read_b32 v29, a158                               // 00000000E07C: D3D8401D 1800019E
	v_mul_f32_e32 v29, v28, v29                                // 00000000E084: 0A3A3B1C
	v_accvgpr_write_b32 a158, v29                              // 00000000E088: D3D9409E 1800011D
	v_accvgpr_read_b32 v29, a159                               // 00000000E090: D3D8401D 1800019F
	v_mul_f32_e32 v29, v28, v29                                // 00000000E098: 0A3A3B1C
	v_accvgpr_write_b32 a159, v29                              // 00000000E09C: D3D9409F 1800011D
	v_accvgpr_read_b32 v29, a160                               // 00000000E0A4: D3D8401D 180001A0
	v_mul_f32_e32 v29, v28, v29                                // 00000000E0AC: 0A3A3B1C
	v_accvgpr_write_b32 a160, v29                              // 00000000E0B0: D3D940A0 1800011D
	v_accvgpr_read_b32 v29, a161                               // 00000000E0B8: D3D8401D 180001A1
	v_mul_f32_e32 v29, v28, v29                                // 00000000E0C0: 0A3A3B1C
	v_accvgpr_write_b32 a161, v29                              // 00000000E0C4: D3D940A1 1800011D
	v_accvgpr_read_b32 v29, a162                               // 00000000E0CC: D3D8401D 180001A2
	v_mul_f32_e32 v29, v28, v29                                // 00000000E0D4: 0A3A3B1C
	v_accvgpr_write_b32 a162, v29                              // 00000000E0D8: D3D940A2 1800011D
	v_accvgpr_read_b32 v29, a163                               // 00000000E0E0: D3D8401D 180001A3
	v_mul_f32_e32 v29, v28, v29                                // 00000000E0E8: 0A3A3B1C
	v_accvgpr_write_b32 a163, v29                              // 00000000E0EC: D3D940A3 1800011D
	v_accvgpr_read_b32 v29, a164                               // 00000000E0F4: D3D8401D 180001A4
	v_mul_f32_e32 v29, v28, v29                                // 00000000E0FC: 0A3A3B1C
	v_accvgpr_write_b32 a164, v29                              // 00000000E100: D3D940A4 1800011D
	v_accvgpr_read_b32 v29, a165                               // 00000000E108: D3D8401D 180001A5
	v_mul_f32_e32 v29, v28, v29                                // 00000000E110: 0A3A3B1C
	v_accvgpr_write_b32 a165, v29                              // 00000000E114: D3D940A5 1800011D
	v_accvgpr_read_b32 v29, a166                               // 00000000E11C: D3D8401D 180001A6
	v_mul_f32_e32 v29, v28, v29                                // 00000000E124: 0A3A3B1C
	v_accvgpr_write_b32 a166, v29                              // 00000000E128: D3D940A6 1800011D
	v_accvgpr_read_b32 v29, a167                               // 00000000E130: D3D8401D 180001A7
	v_mul_f32_e32 v29, v28, v29                                // 00000000E138: 0A3A3B1C
	v_accvgpr_write_b32 a167, v29                              // 00000000E13C: D3D940A7 1800011D
	v_accvgpr_read_b32 v29, a168                               // 00000000E144: D3D8401D 180001A8
	v_mul_f32_e32 v29, v28, v29                                // 00000000E14C: 0A3A3B1C
	v_accvgpr_write_b32 a168, v29                              // 00000000E150: D3D940A8 1800011D
	v_accvgpr_read_b32 v29, a169                               // 00000000E158: D3D8401D 180001A9
	v_mul_f32_e32 v29, v28, v29                                // 00000000E160: 0A3A3B1C
	v_accvgpr_write_b32 a169, v29                              // 00000000E164: D3D940A9 1800011D
	v_accvgpr_read_b32 v29, a170                               // 00000000E16C: D3D8401D 180001AA
	v_mul_f32_e32 v29, v28, v29                                // 00000000E174: 0A3A3B1C
	v_accvgpr_write_b32 a170, v29                              // 00000000E178: D3D940AA 1800011D
	v_accvgpr_read_b32 v29, a171                               // 00000000E180: D3D8401D 180001AB
	v_mul_f32_e32 v29, v28, v29                                // 00000000E188: 0A3A3B1C
	v_accvgpr_write_b32 a171, v29                              // 00000000E18C: D3D940AB 1800011D
	v_accvgpr_read_b32 v29, a172                               // 00000000E194: D3D8401D 180001AC
	v_mul_f32_e32 v29, v28, v29                                // 00000000E19C: 0A3A3B1C
	v_accvgpr_write_b32 a172, v29                              // 00000000E1A0: D3D940AC 1800011D
	v_accvgpr_read_b32 v29, a173                               // 00000000E1A8: D3D8401D 180001AD
	v_mul_f32_e32 v29, v28, v29                                // 00000000E1B0: 0A3A3B1C
	v_accvgpr_write_b32 a173, v29                              // 00000000E1B4: D3D940AD 1800011D
	v_accvgpr_read_b32 v29, a174                               // 00000000E1BC: D3D8401D 180001AE
	v_mul_f32_e32 v29, v28, v29                                // 00000000E1C4: 0A3A3B1C
	v_accvgpr_write_b32 a174, v29                              // 00000000E1C8: D3D940AE 1800011D
	v_accvgpr_read_b32 v29, a175                               // 00000000E1D0: D3D8401D 180001AF
	v_mul_f32_e32 v29, v28, v29                                // 00000000E1D8: 0A3A3B1C
	v_accvgpr_write_b32 a175, v29                              // 00000000E1DC: D3D940AF 1800011D
	v_accvgpr_read_b32 v29, a176                               // 00000000E1E4: D3D8401D 180001B0
	v_mul_f32_e32 v29, v28, v29                                // 00000000E1EC: 0A3A3B1C
	v_accvgpr_write_b32 a176, v29                              // 00000000E1F0: D3D940B0 1800011D
	v_accvgpr_read_b32 v29, a177                               // 00000000E1F8: D3D8401D 180001B1
	v_mul_f32_e32 v29, v28, v29                                // 00000000E200: 0A3A3B1C
	v_accvgpr_write_b32 a177, v29                              // 00000000E204: D3D940B1 1800011D
	v_accvgpr_read_b32 v29, a178                               // 00000000E20C: D3D8401D 180001B2
	v_mul_f32_e32 v29, v28, v29                                // 00000000E214: 0A3A3B1C
	v_accvgpr_write_b32 a178, v29                              // 00000000E218: D3D940B2 1800011D
	v_accvgpr_read_b32 v29, a179                               // 00000000E220: D3D8401D 180001B3
	v_mul_f32_e32 v29, v28, v29                                // 00000000E228: 0A3A3B1C
	v_accvgpr_write_b32 a179, v29                              // 00000000E22C: D3D940B3 1800011D
	v_accvgpr_read_b32 v29, a180                               // 00000000E234: D3D8401D 180001B4
	v_mul_f32_e32 v29, v28, v29                                // 00000000E23C: 0A3A3B1C
	v_accvgpr_write_b32 a180, v29                              // 00000000E240: D3D940B4 1800011D
	v_accvgpr_read_b32 v29, a181                               // 00000000E248: D3D8401D 180001B5
	v_mul_f32_e32 v29, v28, v29                                // 00000000E250: 0A3A3B1C
	v_accvgpr_write_b32 a181, v29                              // 00000000E254: D3D940B5 1800011D
	v_accvgpr_read_b32 v29, a182                               // 00000000E25C: D3D8401D 180001B6
	v_mul_f32_e32 v29, v28, v29                                // 00000000E264: 0A3A3B1C
	v_accvgpr_write_b32 a182, v29                              // 00000000E268: D3D940B6 1800011D
	v_accvgpr_read_b32 v29, a183                               // 00000000E270: D3D8401D 180001B7
	v_mul_f32_e32 v29, v28, v29                                // 00000000E278: 0A3A3B1C
	v_accvgpr_write_b32 a183, v29                              // 00000000E27C: D3D940B7 1800011D
	v_accvgpr_read_b32 v29, a184                               // 00000000E284: D3D8401D 180001B8
	v_mul_f32_e32 v29, v28, v29                                // 00000000E28C: 0A3A3B1C
	v_accvgpr_write_b32 a184, v29                              // 00000000E290: D3D940B8 1800011D
	v_accvgpr_read_b32 v29, a185                               // 00000000E298: D3D8401D 180001B9
	v_mul_f32_e32 v29, v28, v29                                // 00000000E2A0: 0A3A3B1C
	v_accvgpr_write_b32 a185, v29                              // 00000000E2A4: D3D940B9 1800011D
	v_accvgpr_read_b32 v29, a186                               // 00000000E2AC: D3D8401D 180001BA
	v_mul_f32_e32 v29, v28, v29                                // 00000000E2B4: 0A3A3B1C
	v_accvgpr_write_b32 a186, v29                              // 00000000E2B8: D3D940BA 1800011D
	v_accvgpr_read_b32 v29, a187                               // 00000000E2C0: D3D8401D 180001BB
	v_mul_f32_e32 v29, v28, v29                                // 00000000E2C8: 0A3A3B1C
	v_accvgpr_write_b32 a187, v29                              // 00000000E2CC: D3D940BB 1800011D
	v_accvgpr_read_b32 v29, a188                               // 00000000E2D4: D3D8401D 180001BC
	v_mul_f32_e32 v29, v28, v29                                // 00000000E2DC: 0A3A3B1C
	v_accvgpr_write_b32 a188, v29                              // 00000000E2E0: D3D940BC 1800011D
	v_accvgpr_read_b32 v29, a189                               // 00000000E2E8: D3D8401D 180001BD
	v_mul_f32_e32 v29, v28, v29                                // 00000000E2F0: 0A3A3B1C
	v_accvgpr_write_b32 a189, v29                              // 00000000E2F4: D3D940BD 1800011D
	v_accvgpr_read_b32 v29, a190                               // 00000000E2FC: D3D8401D 180001BE
	v_mul_f32_e32 v29, v28, v29                                // 00000000E304: 0A3A3B1C
	v_accvgpr_write_b32 a190, v29                              // 00000000E308: D3D940BE 1800011D
	v_accvgpr_read_b32 v29, a191                               // 00000000E310: D3D8401D 180001BF
	v_mul_f32_e32 v29, v28, v29                                // 00000000E318: 0A3A3B1C
	v_accvgpr_write_b32 a191, v29                              // 00000000E31C: D3D940BF 1800011D
	v_accvgpr_read_b32 v29, a192                               // 00000000E324: D3D8401D 180001C0
	v_mul_f32_e32 v29, v28, v29                                // 00000000E32C: 0A3A3B1C
	v_accvgpr_write_b32 a192, v29                              // 00000000E330: D3D940C0 1800011D
	v_accvgpr_read_b32 v29, a193                               // 00000000E338: D3D8401D 180001C1
	v_mul_f32_e32 v29, v28, v29                                // 00000000E340: 0A3A3B1C
	v_accvgpr_write_b32 a193, v29                              // 00000000E344: D3D940C1 1800011D
	v_accvgpr_read_b32 v29, a194                               // 00000000E34C: D3D8401D 180001C2
	v_mul_f32_e32 v29, v28, v29                                // 00000000E354: 0A3A3B1C
	v_accvgpr_write_b32 a194, v29                              // 00000000E358: D3D940C2 1800011D
	v_accvgpr_read_b32 v29, a195                               // 00000000E360: D3D8401D 180001C3
	v_mul_f32_e32 v29, v28, v29                                // 00000000E368: 0A3A3B1C
	v_accvgpr_write_b32 a195, v29                              // 00000000E36C: D3D940C3 1800011D
	v_accvgpr_read_b32 v29, a196                               // 00000000E374: D3D8401D 180001C4
	v_mul_f32_e32 v29, v28, v29                                // 00000000E37C: 0A3A3B1C
	v_accvgpr_write_b32 a196, v29                              // 00000000E380: D3D940C4 1800011D
	v_accvgpr_read_b32 v29, a197                               // 00000000E388: D3D8401D 180001C5
	v_mul_f32_e32 v29, v28, v29                                // 00000000E390: 0A3A3B1C
	v_accvgpr_write_b32 a197, v29                              // 00000000E394: D3D940C5 1800011D
	v_accvgpr_read_b32 v29, a198                               // 00000000E39C: D3D8401D 180001C6
	v_mul_f32_e32 v29, v28, v29                                // 00000000E3A4: 0A3A3B1C
	v_accvgpr_write_b32 a198, v29                              // 00000000E3A8: D3D940C6 1800011D
	v_accvgpr_read_b32 v29, a199                               // 00000000E3B0: D3D8401D 180001C7
	v_mul_f32_e32 v29, v28, v29                                // 00000000E3B8: 0A3A3B1C
	v_accvgpr_write_b32 a199, v29                              // 00000000E3BC: D3D940C7 1800011D
	v_accvgpr_read_b32 v29, a200                               // 00000000E3C4: D3D8401D 180001C8
	v_mul_f32_e32 v29, v28, v29                                // 00000000E3CC: 0A3A3B1C
	v_accvgpr_write_b32 a200, v29                              // 00000000E3D0: D3D940C8 1800011D
	v_accvgpr_read_b32 v29, a201                               // 00000000E3D8: D3D8401D 180001C9
	v_mul_f32_e32 v29, v28, v29                                // 00000000E3E0: 0A3A3B1C
	v_accvgpr_write_b32 a201, v29                              // 00000000E3E4: D3D940C9 1800011D
	v_accvgpr_read_b32 v29, a202                               // 00000000E3EC: D3D8401D 180001CA
	v_mul_f32_e32 v29, v28, v29                                // 00000000E3F4: 0A3A3B1C
	v_accvgpr_write_b32 a202, v29                              // 00000000E3F8: D3D940CA 1800011D
	v_accvgpr_read_b32 v29, a203                               // 00000000E400: D3D8401D 180001CB
	v_mul_f32_e32 v29, v28, v29                                // 00000000E408: 0A3A3B1C
	v_accvgpr_write_b32 a203, v29                              // 00000000E40C: D3D940CB 1800011D
	v_accvgpr_read_b32 v29, a204                               // 00000000E414: D3D8401D 180001CC
	v_mul_f32_e32 v29, v28, v29                                // 00000000E41C: 0A3A3B1C
	v_accvgpr_write_b32 a204, v29                              // 00000000E420: D3D940CC 1800011D
	v_accvgpr_read_b32 v29, a205                               // 00000000E428: D3D8401D 180001CD
	v_mul_f32_e32 v29, v28, v29                                // 00000000E430: 0A3A3B1C
	v_accvgpr_write_b32 a205, v29                              // 00000000E434: D3D940CD 1800011D
	v_accvgpr_read_b32 v29, a206                               // 00000000E43C: D3D8401D 180001CE
	v_mul_f32_e32 v29, v28, v29                                // 00000000E444: 0A3A3B1C
	v_accvgpr_write_b32 a206, v29                              // 00000000E448: D3D940CE 1800011D
	v_accvgpr_read_b32 v29, a207                               // 00000000E450: D3D8401D 180001CF
	v_mul_f32_e32 v29, v28, v29                                // 00000000E458: 0A3A3B1C
	v_accvgpr_write_b32 a207, v29                              // 00000000E45C: D3D940CF 1800011D
	v_accvgpr_read_b32 v29, a208                               // 00000000E464: D3D8401D 180001D0
	v_mul_f32_e32 v29, v28, v29                                // 00000000E46C: 0A3A3B1C
	v_accvgpr_write_b32 a208, v29                              // 00000000E470: D3D940D0 1800011D
	v_accvgpr_read_b32 v29, a209                               // 00000000E478: D3D8401D 180001D1
	v_mul_f32_e32 v29, v28, v29                                // 00000000E480: 0A3A3B1C
	v_accvgpr_write_b32 a209, v29                              // 00000000E484: D3D940D1 1800011D
	v_accvgpr_read_b32 v29, a210                               // 00000000E48C: D3D8401D 180001D2
	v_mul_f32_e32 v29, v28, v29                                // 00000000E494: 0A3A3B1C
	v_accvgpr_write_b32 a210, v29                              // 00000000E498: D3D940D2 1800011D
	v_accvgpr_read_b32 v29, a211                               // 00000000E4A0: D3D8401D 180001D3
	v_mul_f32_e32 v29, v28, v29                                // 00000000E4A8: 0A3A3B1C
	v_accvgpr_write_b32 a211, v29                              // 00000000E4AC: D3D940D3 1800011D
	v_accvgpr_read_b32 v29, a212                               // 00000000E4B4: D3D8401D 180001D4
	v_mul_f32_e32 v29, v28, v29                                // 00000000E4BC: 0A3A3B1C
	v_accvgpr_write_b32 a212, v29                              // 00000000E4C0: D3D940D4 1800011D
	v_accvgpr_read_b32 v29, a213                               // 00000000E4C8: D3D8401D 180001D5
	v_mul_f32_e32 v29, v28, v29                                // 00000000E4D0: 0A3A3B1C
	v_accvgpr_write_b32 a213, v29                              // 00000000E4D4: D3D940D5 1800011D
	v_accvgpr_read_b32 v29, a214                               // 00000000E4DC: D3D8401D 180001D6
	v_mul_f32_e32 v29, v28, v29                                // 00000000E4E4: 0A3A3B1C
	v_accvgpr_write_b32 a214, v29                              // 00000000E4E8: D3D940D6 1800011D
	v_accvgpr_read_b32 v29, a215                               // 00000000E4F0: D3D8401D 180001D7
	v_mul_f32_e32 v29, v28, v29                                // 00000000E4F8: 0A3A3B1C
	v_accvgpr_write_b32 a215, v29                              // 00000000E4FC: D3D940D7 1800011D
	v_accvgpr_read_b32 v29, a216                               // 00000000E504: D3D8401D 180001D8
	v_mul_f32_e32 v29, v28, v29                                // 00000000E50C: 0A3A3B1C
	v_accvgpr_write_b32 a216, v29                              // 00000000E510: D3D940D8 1800011D
	v_accvgpr_read_b32 v29, a217                               // 00000000E518: D3D8401D 180001D9
	v_mul_f32_e32 v29, v28, v29                                // 00000000E520: 0A3A3B1C
	v_accvgpr_write_b32 a217, v29                              // 00000000E524: D3D940D9 1800011D
	v_accvgpr_read_b32 v29, a218                               // 00000000E52C: D3D8401D 180001DA
	v_mul_f32_e32 v29, v28, v29                                // 00000000E534: 0A3A3B1C
	v_accvgpr_write_b32 a218, v29                              // 00000000E538: D3D940DA 1800011D
	v_accvgpr_read_b32 v29, a219                               // 00000000E540: D3D8401D 180001DB
	v_mul_f32_e32 v29, v28, v29                                // 00000000E548: 0A3A3B1C
	v_accvgpr_write_b32 a219, v29                              // 00000000E54C: D3D940DB 1800011D
	v_accvgpr_read_b32 v29, a220                               // 00000000E554: D3D8401D 180001DC
	v_mul_f32_e32 v29, v28, v29                                // 00000000E55C: 0A3A3B1C
	v_accvgpr_write_b32 a220, v29                              // 00000000E560: D3D940DC 1800011D
	v_accvgpr_read_b32 v29, a221                               // 00000000E568: D3D8401D 180001DD
	v_mul_f32_e32 v29, v28, v29                                // 00000000E570: 0A3A3B1C
	v_accvgpr_write_b32 a221, v29                              // 00000000E574: D3D940DD 1800011D
	v_accvgpr_read_b32 v29, a222                               // 00000000E57C: D3D8401D 180001DE
	v_mul_f32_e32 v29, v28, v29                                // 00000000E584: 0A3A3B1C
	v_accvgpr_write_b32 a222, v29                              // 00000000E588: D3D940DE 1800011D
	v_accvgpr_read_b32 v29, a223                               // 00000000E590: D3D8401D 180001DF
	v_mul_f32_e32 v29, v28, v29                                // 00000000E598: 0A3A3B1C
	v_accvgpr_write_b32 a223, v29                              // 00000000E59C: D3D940DF 1800011D
	v_accvgpr_read_b32 v29, a224                               // 00000000E5A4: D3D8401D 180001E0
	v_mul_f32_e32 v29, v28, v29                                // 00000000E5AC: 0A3A3B1C
	v_accvgpr_write_b32 a224, v29                              // 00000000E5B0: D3D940E0 1800011D
	v_accvgpr_read_b32 v29, a225                               // 00000000E5B8: D3D8401D 180001E1
	v_mul_f32_e32 v29, v28, v29                                // 00000000E5C0: 0A3A3B1C
	v_accvgpr_write_b32 a225, v29                              // 00000000E5C4: D3D940E1 1800011D
	v_accvgpr_read_b32 v29, a226                               // 00000000E5CC: D3D8401D 180001E2
	v_mul_f32_e32 v29, v28, v29                                // 00000000E5D4: 0A3A3B1C
	v_accvgpr_write_b32 a226, v29                              // 00000000E5D8: D3D940E2 1800011D
	v_accvgpr_read_b32 v29, a227                               // 00000000E5E0: D3D8401D 180001E3
	v_mul_f32_e32 v29, v28, v29                                // 00000000E5E8: 0A3A3B1C
	v_accvgpr_write_b32 a227, v29                              // 00000000E5EC: D3D940E3 1800011D
	v_accvgpr_read_b32 v29, a228                               // 00000000E5F4: D3D8401D 180001E4
	v_mul_f32_e32 v29, v28, v29                                // 00000000E5FC: 0A3A3B1C
	v_accvgpr_write_b32 a228, v29                              // 00000000E600: D3D940E4 1800011D
	v_accvgpr_read_b32 v29, a229                               // 00000000E608: D3D8401D 180001E5
	v_mul_f32_e32 v29, v28, v29                                // 00000000E610: 0A3A3B1C
	v_accvgpr_write_b32 a229, v29                              // 00000000E614: D3D940E5 1800011D
	v_accvgpr_read_b32 v29, a230                               // 00000000E61C: D3D8401D 180001E6
	v_mul_f32_e32 v29, v28, v29                                // 00000000E624: 0A3A3B1C
	v_accvgpr_write_b32 a230, v29                              // 00000000E628: D3D940E6 1800011D
	v_accvgpr_read_b32 v29, a231                               // 00000000E630: D3D8401D 180001E7
	v_mul_f32_e32 v29, v28, v29                                // 00000000E638: 0A3A3B1C
	v_accvgpr_write_b32 a231, v29                              // 00000000E63C: D3D940E7 1800011D
	v_accvgpr_read_b32 v29, a232                               // 00000000E644: D3D8401D 180001E8
	v_mul_f32_e32 v29, v28, v29                                // 00000000E64C: 0A3A3B1C
	v_accvgpr_write_b32 a232, v29                              // 00000000E650: D3D940E8 1800011D
	v_accvgpr_read_b32 v29, a233                               // 00000000E658: D3D8401D 180001E9
	v_mul_f32_e32 v29, v28, v29                                // 00000000E660: 0A3A3B1C
	v_accvgpr_write_b32 a233, v29                              // 00000000E664: D3D940E9 1800011D
	v_accvgpr_read_b32 v29, a234                               // 00000000E66C: D3D8401D 180001EA
	v_mul_f32_e32 v29, v28, v29                                // 00000000E674: 0A3A3B1C
	v_accvgpr_write_b32 a234, v29                              // 00000000E678: D3D940EA 1800011D
	v_accvgpr_read_b32 v29, a235                               // 00000000E680: D3D8401D 180001EB
	v_mul_f32_e32 v29, v28, v29                                // 00000000E688: 0A3A3B1C
	v_accvgpr_write_b32 a235, v29                              // 00000000E68C: D3D940EB 1800011D
	v_accvgpr_read_b32 v29, a236                               // 00000000E694: D3D8401D 180001EC
	v_mul_f32_e32 v29, v28, v29                                // 00000000E69C: 0A3A3B1C
	v_accvgpr_write_b32 a236, v29                              // 00000000E6A0: D3D940EC 1800011D
	v_accvgpr_read_b32 v29, a237                               // 00000000E6A8: D3D8401D 180001ED
	v_mul_f32_e32 v29, v28, v29                                // 00000000E6B0: 0A3A3B1C
	v_accvgpr_write_b32 a237, v29                              // 00000000E6B4: D3D940ED 1800011D
	v_accvgpr_read_b32 v29, a238                               // 00000000E6BC: D3D8401D 180001EE
	v_mul_f32_e32 v29, v28, v29                                // 00000000E6C4: 0A3A3B1C
	v_accvgpr_write_b32 a238, v29                              // 00000000E6C8: D3D940EE 1800011D
	v_accvgpr_read_b32 v29, a239                               // 00000000E6D0: D3D8401D 180001EF
	v_mul_f32_e32 v29, v28, v29                                // 00000000E6D8: 0A3A3B1C
	v_accvgpr_write_b32 a239, v29                              // 00000000E6DC: D3D940EF 1800011D
	v_mfma_f32_32x32x64_f8f6f4 v[64:79], a[72:79], v[32:39], v[64:79]// 00000000E6E4: D3AE0040 0D024148
	v_mfma_f32_32x32x64_f8f6f4 v[80:95], a[80:87], v[32:39], v[80:95]// 00000000E6EC: D3AE0050 0D424150
	v_mfma_f32_32x32x64_f8f6f4 v[96:111], a[88:95], v[32:39], v[96:111]// 00000000E6F4: D3AE0060 0D824158
	v_mfma_f32_32x32x64_f8f6f4 v[112:127], a[96:103], v[32:39], v[112:127]// 00000000E6FC: D3AE0070 0DC24160
	v_mfma_f32_32x32x64_f8f6f4 v[128:143], a[104:111], v[32:39], v[128:143]// 00000000E704: D3AE0080 0E024168
	v_mfma_f32_32x32x64_f8f6f4 v[144:159], a[112:119], v[32:39], v[144:159]// 00000000E70C: D3AE0090 0E424170
	v_mfma_f32_32x32x64_f8f6f4 v[160:175], a[120:127], v[32:39], v[160:175]// 00000000E714: D3AE00A0 0E824178
	v_mfma_f32_32x32x64_f8f6f4 v[176:191], a[128:135], v[32:39], v[176:191]// 00000000E71C: D3AE00B0 0EC24180
	ds_read_b64_tr_b8 a[72:73], v9 offset:4096                 // 00000000E724: DBC41000 48000009
	ds_read_b64_tr_b8 a[74:75], v10 offset:4096                // 00000000E72C: DBC41000 4A00000A
	ds_read_b64_tr_b8 a[76:77], v9 offset:22528                // 00000000E734: DBC45800 4C000009
	ds_read_b64_tr_b8 a[78:79], v10 offset:22528               // 00000000E73C: DBC45800 4E00000A
	ds_read_b64_tr_b8 a[80:81], v11 offset:4096                // 00000000E744: DBC41000 5000000B
	ds_read_b64_tr_b8 a[82:83], v12 offset:4096                // 00000000E74C: DBC41000 5200000C
	ds_read_b64_tr_b8 a[84:85], v11 offset:22528               // 00000000E754: DBC45800 5400000B
	ds_read_b64_tr_b8 a[86:87], v12 offset:22528               // 00000000E75C: DBC45800 5600000C
	ds_read_b64_tr_b8 a[88:89], v9 offset:5120                 // 00000000E764: DBC41400 58000009
	ds_read_b64_tr_b8 a[90:91], v10 offset:5120                // 00000000E76C: DBC41400 5A00000A
	ds_read_b64_tr_b8 a[92:93], v9 offset:23552                // 00000000E774: DBC45C00 5C000009
	ds_read_b64_tr_b8 a[94:95], v10 offset:23552               // 00000000E77C: DBC45C00 5E00000A
	ds_read_b64_tr_b8 a[96:97], v11 offset:5120                // 00000000E784: DBC41400 6000000B
	ds_read_b64_tr_b8 a[98:99], v12 offset:5120                // 00000000E78C: DBC41400 6200000C
	ds_read_b64_tr_b8 a[100:101], v11 offset:23552             // 00000000E794: DBC45C00 6400000B
	ds_read_b64_tr_b8 a[102:103], v12 offset:23552             // 00000000E79C: DBC45C00 6600000C
	ds_read_b64_tr_b8 a[104:105], v9 offset:6144               // 00000000E7A4: DBC41800 68000009
	ds_read_b64_tr_b8 a[106:107], v10 offset:6144              // 00000000E7AC: DBC41800 6A00000A
	ds_read_b64_tr_b8 a[108:109], v9 offset:24576              // 00000000E7B4: DBC46000 6C000009
	ds_read_b64_tr_b8 a[110:111], v10 offset:24576             // 00000000E7BC: DBC46000 6E00000A
	ds_read_b64_tr_b8 a[112:113], v11 offset:6144              // 00000000E7C4: DBC41800 7000000B
	ds_read_b64_tr_b8 a[114:115], v12 offset:6144              // 00000000E7CC: DBC41800 7200000C
	ds_read_b64_tr_b8 a[116:117], v11 offset:24576             // 00000000E7D4: DBC46000 7400000B
	ds_read_b64_tr_b8 a[118:119], v12 offset:24576             // 00000000E7DC: DBC46000 7600000C
	ds_read_b64_tr_b8 a[120:121], v9 offset:7168               // 00000000E7E4: DBC41C00 78000009
	ds_read_b64_tr_b8 a[122:123], v10 offset:7168              // 00000000E7EC: DBC41C00 7A00000A
	ds_read_b64_tr_b8 a[124:125], v9 offset:25600              // 00000000E7F4: DBC46400 7C000009
	ds_read_b64_tr_b8 a[126:127], v10 offset:25600             // 00000000E7FC: DBC46400 7E00000A
	ds_read_b64_tr_b8 a[128:129], v11 offset:7168              // 00000000E804: DBC41C00 8000000B
	ds_read_b64_tr_b8 a[130:131], v12 offset:7168              // 00000000E80C: DBC41C00 8200000C
	ds_read_b64_tr_b8 a[132:133], v11 offset:25600             // 00000000E814: DBC46400 8400000B
	ds_read_b64_tr_b8 a[134:135], v12 offset:25600             // 00000000E81C: DBC46400 8600000C
	s_waitcnt lgkmcnt(0)                                       // 00000000E824: BF8CC07F
	v_mfma_f32_32x32x64_f8f6f4 v[192:207], a[72:79], v[32:39], v[192:207]// 00000000E828: D3AE00C0 0F024148
	v_mfma_f32_32x32x64_f8f6f4 v[208:223], a[80:87], v[32:39], v[208:223]// 00000000E830: D3AE00D0 0F424150
	v_mfma_f32_32x32x64_f8f6f4 a[144:159], a[88:95], v[32:39], a[144:159]// 00000000E838: D3AE8090 0E424158
	v_mfma_f32_32x32x64_f8f6f4 a[160:175], a[96:103], v[32:39], a[160:175]// 00000000E840: D3AE80A0 0E824160
	v_mfma_f32_32x32x64_f8f6f4 a[176:191], a[104:111], v[32:39], a[176:191]// 00000000E848: D3AE80B0 0EC24168
	v_mfma_f32_32x32x64_f8f6f4 a[192:207], a[112:119], v[32:39], a[192:207]// 00000000E850: D3AE80C0 0F024170
	v_mfma_f32_32x32x64_f8f6f4 a[208:223], a[120:127], v[32:39], a[208:223]// 00000000E858: D3AE80D0 0F424178
	v_mfma_f32_32x32x64_f8f6f4 a[224:239], a[128:135], v[32:39], a[224:239]// 00000000E860: D3AE80E0 0F824180
	s_nop 8                                                    // 00000000E868: BF800008
	s_branch label_DE28                                        // 00000000E86C: BF8205EC

000000000000e870 <label_C470>:
	s_waitcnt lgkmcnt(4)                                       // 00000000E870: BF8CC47F
	v_mfma_f32_32x32x64_f8f6f4 v[32:47], a[72:79], a[0:7], 0   // 00000000E874: D3AE0020 1A020148
	v_mfma_f32_32x32x64_f8f6f4 v[32:47], a[80:87], a[8:15], v[32:47]// 00000000E87C: D3AE0020 1C821150
	v_mfma_f32_32x32x64_f8f6f4 v[32:47], a[88:95], a[16:23], v[32:47]// 00000000E884: D3AE0020 1C822158
	ds_read_b128 a[72:75], v22 offset:18432                    // 00000000E88C: DBFE4800 48000016
	ds_read_b128 a[76:79], v23 offset:18432                    // 00000000E894: DBFE4800 4C000017
	v_mfma_f32_32x32x64_f8f6f4 v[32:47], a[96:103], a[24:31], v[32:47]// 00000000E89C: D3AE0020 1C823160
	ds_read_b128 a[80:83], v22 offset:19456                    // 00000000E8A4: DBFE4C00 50000016
	ds_read_b128 a[84:87], v23 offset:19456                    // 00000000E8AC: DBFE4C00 54000017
	v_mfma_f32_32x32x64_f8f6f4 v[32:47], a[104:111], a[32:39], v[32:47]// 00000000E8B4: D3AE0020 1C824168
	ds_read_b128 a[88:91], v22 offset:20480                    // 00000000E8BC: DBFE5000 58000016
	ds_read_b128 a[92:95], v23 offset:20480                    // 00000000E8C4: DBFE5000 5C000017
	v_mfma_f32_32x32x64_f8f6f4 v[32:47], a[112:119], a[40:47], v[32:47]// 00000000E8CC: D3AE0020 1C825170
	ds_read_b128 a[96:99], v22 offset:21504                    // 00000000E8D4: DBFE5400 60000016
	ds_read_b128 a[100:103], v23 offset:21504                  // 00000000E8DC: DBFE5400 64000017
	v_mfma_f32_32x32x64_f8f6f4 v[32:47], a[120:127], a[48:55], v[32:47]// 00000000E8E4: D3AE0020 1C826178
	ds_read_b128 a[104:107], v22 offset:22528                  // 00000000E8EC: DBFE5800 68000016
	ds_read_b128 a[108:111], v23 offset:22528                  // 00000000E8F4: DBFE5800 6C000017
	v_mfma_f32_32x32x64_f8f6f4 v[32:47], a[128:135], a[56:63], v[32:47]// 00000000E8FC: D3AE0020 1C827180
	ds_read_b128 a[112:115], v22 offset:23552                  // 00000000E904: DBFE5C00 70000016
	ds_read_b128 a[116:119], v23 offset:23552                  // 00000000E90C: DBFE5C00 74000017
	v_mfma_f32_32x32x64_f8f6f4 v[32:47], a[136:143], a[64:71], v[32:47]// 00000000E914: D3AE0020 1C828188
	ds_read_b128 a[120:123], v22 offset:24576                  // 00000000E91C: DBFE6000 78000016
	ds_read_b128 a[124:127], v23 offset:24576                  // 00000000E924: DBFE6000 7C000017
	ds_read_b128 a[128:131], v22 offset:25600                  // 00000000E92C: DBFE6400 80000016
	ds_read_b128 a[132:135], v23 offset:25600                  // 00000000E934: DBFE6400 84000017
	ds_read_b128 a[136:139], v22 offset:26624                  // 00000000E93C: DBFE6800 88000016
	ds_read_b128 a[140:143], v23 offset:26624                  // 00000000E944: DBFE6800 8C000017
	s_waitcnt lgkmcnt(4)                                       // 00000000E94C: BF8CC47F
	v_mfma_f32_32x32x64_f8f6f4 v[48:63], a[72:79], a[0:7], 0   // 00000000E950: D3AE0030 1A020148
	v_mfma_f32_32x32x64_f8f6f4 v[48:63], a[80:87], a[8:15], v[48:63]// 00000000E958: D3AE0030 1CC21150
	v_mfma_f32_32x32x64_f8f6f4 v[48:63], a[88:95], a[16:23], v[48:63]// 00000000E960: D3AE0030 1CC22158
	ds_read_b64_tr_b8 a[72:73], v13                            // 00000000E968: DBC40000 4800000D
	ds_read_b64_tr_b8 a[74:75], v14                            // 00000000E970: DBC40000 4A00000E
	ds_read_b64_tr_b8 a[76:77], v13 offset:18432               // 00000000E978: DBC44800 4C00000D
	ds_read_b64_tr_b8 a[78:79], v14 offset:18432               // 00000000E980: DBC44800 4E00000E
	v_mfma_f32_32x32x64_f8f6f4 v[48:63], a[96:103], a[24:31], v[48:63]// 00000000E988: D3AE0030 1CC23160
	ds_read_b64_tr_b8 a[80:81], v15                            // 00000000E990: DBC40000 5000000F
	ds_read_b64_tr_b8 a[82:83], v16                            // 00000000E998: DBC40000 52000010
	ds_read_b64_tr_b8 a[84:85], v15 offset:18432               // 00000000E9A0: DBC44800 5400000F
	ds_read_b64_tr_b8 a[86:87], v16 offset:18432               // 00000000E9A8: DBC44800 56000010
	v_mfma_f32_32x32x64_f8f6f4 v[48:63], a[104:111], a[32:39], v[48:63]// 00000000E9B0: D3AE0030 1CC24168
	ds_read_b64_tr_b8 a[88:89], v13 offset:1024                // 00000000E9B8: DBC40400 5800000D
	ds_read_b64_tr_b8 a[90:91], v14 offset:1024                // 00000000E9C0: DBC40400 5A00000E
	ds_read_b64_tr_b8 a[92:93], v13 offset:19456               // 00000000E9C8: DBC44C00 5C00000D
	ds_read_b64_tr_b8 a[94:95], v14 offset:19456               // 00000000E9D0: DBC44C00 5E00000E
	v_mfma_f32_32x32x64_f8f6f4 v[48:63], a[112:119], a[40:47], v[48:63]// 00000000E9D8: D3AE0030 1CC25170
	ds_read_b64_tr_b8 a[96:97], v15 offset:1024                // 00000000E9E0: DBC40400 6000000F
	ds_read_b64_tr_b8 a[98:99], v16 offset:1024                // 00000000E9E8: DBC40400 62000010
	ds_read_b64_tr_b8 a[100:101], v15 offset:19456             // 00000000E9F0: DBC44C00 6400000F
	ds_read_b64_tr_b8 a[102:103], v16 offset:19456             // 00000000E9F8: DBC44C00 66000010
	v_mfma_f32_32x32x64_f8f6f4 v[48:63], a[120:127], a[48:55], v[48:63]// 00000000EA00: D3AE0030 1CC26178
	ds_read_b64_tr_b8 a[104:105], v13 offset:2048              // 00000000EA08: DBC40800 6800000D
	ds_read_b64_tr_b8 a[106:107], v14 offset:2048              // 00000000EA10: DBC40800 6A00000E
	ds_read_b64_tr_b8 a[108:109], v13 offset:20480             // 00000000EA18: DBC45000 6C00000D
	ds_read_b64_tr_b8 a[110:111], v14 offset:20480             // 00000000EA20: DBC45000 6E00000E
	v_mfma_f32_32x32x64_f8f6f4 v[48:63], a[128:135], a[56:63], v[48:63]// 00000000EA28: D3AE0030 1CC27180
	ds_read_b64_tr_b8 a[112:113], v15 offset:2048              // 00000000EA30: DBC40800 7000000F
	ds_read_b64_tr_b8 a[114:115], v16 offset:2048              // 00000000EA38: DBC40800 72000010
	ds_read_b64_tr_b8 a[116:117], v15 offset:20480             // 00000000EA40: DBC45000 7400000F
	ds_read_b64_tr_b8 a[118:119], v16 offset:20480             // 00000000EA48: DBC45000 76000010
	v_mfma_f32_32x32x64_f8f6f4 v[48:63], a[136:143], a[64:71], v[48:63]// 00000000EA50: D3AE0030 1CC28188
	ds_read_b64_tr_b8 a[120:121], v13 offset:3072              // 00000000EA58: DBC40C00 7800000D
	ds_read_b64_tr_b8 a[122:123], v14 offset:3072              // 00000000EA60: DBC40C00 7A00000E
	ds_read_b64_tr_b8 a[124:125], v13 offset:21504             // 00000000EA68: DBC45400 7C00000D
	ds_read_b64_tr_b8 a[126:127], v14 offset:21504             // 00000000EA70: DBC45400 7E00000E
	ds_read_b64_tr_b8 a[128:129], v15 offset:3072              // 00000000EA78: DBC40C00 8000000F
	ds_read_b64_tr_b8 a[130:131], v16 offset:3072              // 00000000EA80: DBC40C00 82000010
	ds_read_b64_tr_b8 a[132:133], v15 offset:21504             // 00000000EA88: DBC45400 8400000F
	ds_read_b64_tr_b8 a[134:135], v16 offset:21504             // 00000000EA90: DBC45400 86000010
	s_nop 8                                                    // 00000000EA98: BF800008
	s_and_b32 s56, s48, 0xff                                   // 00000000EA9C: 8638FF30 000000FF
	v_mov_b32_e32 v29, s56                                     // 00000000EAA4: 7E3A0238
	v_lshrrev_b32_e32 v223, 5, v0                              // 00000000EAA8: 21BE0085
	v_mul_i32_i24_e32 v223, 4, v223                            // 00000000EAAC: 0DBFBE84
	v_add_u32_e32 v224, 1, v223                                // 00000000EAB0: 69C1BE81
	v_add_u32_e32 v225, 2, v223                                // 00000000EAB4: 69C3BE82
	v_add_u32_e32 v226, 3, v223                                // 00000000EAB8: 69C5BE83
	v_mov_b32_e32 v28, 0xff800000                              // 00000000EABC: 7E3802FF FF800000
	v_cmp_lt_u32_e64 s[36:37], v223, v29                       // 00000000EAC4: D0C90024 00023BDF
	v_add_u32_e32 v223, 8, v223                                // 00000000EACC: 69BFBE88
	s_nop 0                                                    // 00000000EAD0: BF800000
	v_cndmask_b32_e64 v32, v28, v32, s[36:37]                  // 00000000EAD4: D1000020 0092411C
	v_cmp_lt_u32_e64 s[36:37], v224, v29                       // 00000000EADC: D0C90024 00023BE0
	v_add_u32_e32 v224, 8, v224                                // 00000000EAE4: 69C1C088
	s_nop 0                                                    // 00000000EAE8: BF800000
	v_cndmask_b32_e64 v33, v28, v33, s[36:37]                  // 00000000EAEC: D1000021 0092431C
	v_cmp_lt_u32_e64 s[36:37], v225, v29                       // 00000000EAF4: D0C90024 00023BE1
	v_add_u32_e32 v225, 8, v225                                // 00000000EAFC: 69C3C288
	s_nop 0                                                    // 00000000EB00: BF800000
	v_cndmask_b32_e64 v34, v28, v34, s[36:37]                  // 00000000EB04: D1000022 0092451C
	v_cmp_lt_u32_e64 s[36:37], v226, v29                       // 00000000EB0C: D0C90024 00023BE2
	v_add_u32_e32 v226, 8, v226                                // 00000000EB14: 69C5C488
	s_nop 0                                                    // 00000000EB18: BF800000
	v_cndmask_b32_e64 v35, v28, v35, s[36:37]                  // 00000000EB1C: D1000023 0092471C
	v_cmp_lt_u32_e64 s[36:37], v223, v29                       // 00000000EB24: D0C90024 00023BDF
	v_add_u32_e32 v223, 8, v223                                // 00000000EB2C: 69BFBE88
	s_nop 0                                                    // 00000000EB30: BF800000
	v_cndmask_b32_e64 v36, v28, v36, s[36:37]                  // 00000000EB34: D1000024 0092491C
	v_cmp_lt_u32_e64 s[36:37], v224, v29                       // 00000000EB3C: D0C90024 00023BE0
	v_add_u32_e32 v224, 8, v224                                // 00000000EB44: 69C1C088
	s_nop 0                                                    // 00000000EB48: BF800000
	v_cndmask_b32_e64 v37, v28, v37, s[36:37]                  // 00000000EB4C: D1000025 00924B1C
	v_cmp_lt_u32_e64 s[36:37], v225, v29                       // 00000000EB54: D0C90024 00023BE1
	v_add_u32_e32 v225, 8, v225                                // 00000000EB5C: 69C3C288
	s_nop 0                                                    // 00000000EB60: BF800000
	v_cndmask_b32_e64 v38, v28, v38, s[36:37]                  // 00000000EB64: D1000026 00924D1C
	v_cmp_lt_u32_e64 s[36:37], v226, v29                       // 00000000EB6C: D0C90024 00023BE2
	v_add_u32_e32 v226, 8, v226                                // 00000000EB74: 69C5C488
	s_nop 0                                                    // 00000000EB78: BF800000
	v_cndmask_b32_e64 v39, v28, v39, s[36:37]                  // 00000000EB7C: D1000027 00924F1C
	v_cmp_lt_u32_e64 s[36:37], v223, v29                       // 00000000EB84: D0C90024 00023BDF
	v_add_u32_e32 v223, 8, v223                                // 00000000EB8C: 69BFBE88
	s_nop 0                                                    // 00000000EB90: BF800000
	v_cndmask_b32_e64 v40, v28, v40, s[36:37]                  // 00000000EB94: D1000028 0092511C
	v_cmp_lt_u32_e64 s[36:37], v224, v29                       // 00000000EB9C: D0C90024 00023BE0
	v_add_u32_e32 v224, 8, v224                                // 00000000EBA4: 69C1C088
	s_nop 0                                                    // 00000000EBA8: BF800000
	v_cndmask_b32_e64 v41, v28, v41, s[36:37]                  // 00000000EBAC: D1000029 0092531C
	v_cmp_lt_u32_e64 s[36:37], v225, v29                       // 00000000EBB4: D0C90024 00023BE1
	v_add_u32_e32 v225, 8, v225                                // 00000000EBBC: 69C3C288
	s_nop 0                                                    // 00000000EBC0: BF800000
	v_cndmask_b32_e64 v42, v28, v42, s[36:37]                  // 00000000EBC4: D100002A 0092551C
	v_cmp_lt_u32_e64 s[36:37], v226, v29                       // 00000000EBCC: D0C90024 00023BE2
	v_add_u32_e32 v226, 8, v226                                // 00000000EBD4: 69C5C488
	s_nop 0                                                    // 00000000EBD8: BF800000
	v_cndmask_b32_e64 v43, v28, v43, s[36:37]                  // 00000000EBDC: D100002B 0092571C
	v_cmp_lt_u32_e64 s[36:37], v223, v29                       // 00000000EBE4: D0C90024 00023BDF
	v_add_u32_e32 v223, 8, v223                                // 00000000EBEC: 69BFBE88
	s_nop 0                                                    // 00000000EBF0: BF800000
	v_cndmask_b32_e64 v44, v28, v44, s[36:37]                  // 00000000EBF4: D100002C 0092591C
	v_cmp_lt_u32_e64 s[36:37], v224, v29                       // 00000000EBFC: D0C90024 00023BE0
	v_add_u32_e32 v224, 8, v224                                // 00000000EC04: 69C1C088
	s_nop 0                                                    // 00000000EC08: BF800000
	v_cndmask_b32_e64 v45, v28, v45, s[36:37]                  // 00000000EC0C: D100002D 00925B1C
	v_cmp_lt_u32_e64 s[36:37], v225, v29                       // 00000000EC14: D0C90024 00023BE1
	v_add_u32_e32 v225, 8, v225                                // 00000000EC1C: 69C3C288
	s_nop 0                                                    // 00000000EC20: BF800000
	v_cndmask_b32_e64 v46, v28, v46, s[36:37]                  // 00000000EC24: D100002E 00925D1C
	v_cmp_lt_u32_e64 s[36:37], v226, v29                       // 00000000EC2C: D0C90024 00023BE2
	v_add_u32_e32 v226, 8, v226                                // 00000000EC34: 69C5C488
	s_nop 0                                                    // 00000000EC38: BF800000
	v_cndmask_b32_e64 v47, v28, v47, s[36:37]                  // 00000000EC3C: D100002F 00925F1C
	v_cmp_lt_u32_e64 s[36:37], v223, v29                       // 00000000EC44: D0C90024 00023BDF
	v_add_u32_e32 v223, 8, v223                                // 00000000EC4C: 69BFBE88
	s_nop 0                                                    // 00000000EC50: BF800000
	v_cndmask_b32_e64 v48, v28, v48, s[36:37]                  // 00000000EC54: D1000030 0092611C
	v_cmp_lt_u32_e64 s[36:37], v224, v29                       // 00000000EC5C: D0C90024 00023BE0
	v_add_u32_e32 v224, 8, v224                                // 00000000EC64: 69C1C088
	s_nop 0                                                    // 00000000EC68: BF800000
	v_cndmask_b32_e64 v49, v28, v49, s[36:37]                  // 00000000EC6C: D1000031 0092631C
	v_cmp_lt_u32_e64 s[36:37], v225, v29                       // 00000000EC74: D0C90024 00023BE1
	v_add_u32_e32 v225, 8, v225                                // 00000000EC7C: 69C3C288
	s_nop 0                                                    // 00000000EC80: BF800000
	v_cndmask_b32_e64 v50, v28, v50, s[36:37]                  // 00000000EC84: D1000032 0092651C
	v_cmp_lt_u32_e64 s[36:37], v226, v29                       // 00000000EC8C: D0C90024 00023BE2
	v_add_u32_e32 v226, 8, v226                                // 00000000EC94: 69C5C488
	s_nop 0                                                    // 00000000EC98: BF800000
	v_cndmask_b32_e64 v51, v28, v51, s[36:37]                  // 00000000EC9C: D1000033 0092671C
	v_cmp_lt_u32_e64 s[36:37], v223, v29                       // 00000000ECA4: D0C90024 00023BDF
	v_add_u32_e32 v223, 8, v223                                // 00000000ECAC: 69BFBE88
	s_nop 0                                                    // 00000000ECB0: BF800000
	v_cndmask_b32_e64 v52, v28, v52, s[36:37]                  // 00000000ECB4: D1000034 0092691C
	v_cmp_lt_u32_e64 s[36:37], v224, v29                       // 00000000ECBC: D0C90024 00023BE0
	v_add_u32_e32 v224, 8, v224                                // 00000000ECC4: 69C1C088
	s_nop 0                                                    // 00000000ECC8: BF800000
	v_cndmask_b32_e64 v53, v28, v53, s[36:37]                  // 00000000ECCC: D1000035 00926B1C
	v_cmp_lt_u32_e64 s[36:37], v225, v29                       // 00000000ECD4: D0C90024 00023BE1
	v_add_u32_e32 v225, 8, v225                                // 00000000ECDC: 69C3C288
	s_nop 0                                                    // 00000000ECE0: BF800000
	v_cndmask_b32_e64 v54, v28, v54, s[36:37]                  // 00000000ECE4: D1000036 00926D1C
	v_cmp_lt_u32_e64 s[36:37], v226, v29                       // 00000000ECEC: D0C90024 00023BE2
	v_add_u32_e32 v226, 8, v226                                // 00000000ECF4: 69C5C488
	s_nop 0                                                    // 00000000ECF8: BF800000
	v_cndmask_b32_e64 v55, v28, v55, s[36:37]                  // 00000000ECFC: D1000037 00926F1C
	v_cmp_lt_u32_e64 s[36:37], v223, v29                       // 00000000ED04: D0C90024 00023BDF
	v_add_u32_e32 v223, 8, v223                                // 00000000ED0C: 69BFBE88
	s_nop 0                                                    // 00000000ED10: BF800000
	v_cndmask_b32_e64 v56, v28, v56, s[36:37]                  // 00000000ED14: D1000038 0092711C
	v_cmp_lt_u32_e64 s[36:37], v224, v29                       // 00000000ED1C: D0C90024 00023BE0
	v_add_u32_e32 v224, 8, v224                                // 00000000ED24: 69C1C088
	s_nop 0                                                    // 00000000ED28: BF800000
	v_cndmask_b32_e64 v57, v28, v57, s[36:37]                  // 00000000ED2C: D1000039 0092731C
	v_cmp_lt_u32_e64 s[36:37], v225, v29                       // 00000000ED34: D0C90024 00023BE1
	v_add_u32_e32 v225, 8, v225                                // 00000000ED3C: 69C3C288
	s_nop 0                                                    // 00000000ED40: BF800000
	v_cndmask_b32_e64 v58, v28, v58, s[36:37]                  // 00000000ED44: D100003A 0092751C
	v_cmp_lt_u32_e64 s[36:37], v226, v29                       // 00000000ED4C: D0C90024 00023BE2
	v_add_u32_e32 v226, 8, v226                                // 00000000ED54: 69C5C488
	s_nop 0                                                    // 00000000ED58: BF800000
	v_cndmask_b32_e64 v59, v28, v59, s[36:37]                  // 00000000ED5C: D100003B 0092771C
	v_cmp_lt_u32_e64 s[36:37], v223, v29                       // 00000000ED64: D0C90024 00023BDF
	v_add_u32_e32 v223, 8, v223                                // 00000000ED6C: 69BFBE88
	s_nop 0                                                    // 00000000ED70: BF800000
	v_cndmask_b32_e64 v60, v28, v60, s[36:37]                  // 00000000ED74: D100003C 0092791C
	v_cmp_lt_u32_e64 s[36:37], v224, v29                       // 00000000ED7C: D0C90024 00023BE0
	v_add_u32_e32 v224, 8, v224                                // 00000000ED84: 69C1C088
	s_nop 0                                                    // 00000000ED88: BF800000
	v_cndmask_b32_e64 v61, v28, v61, s[36:37]                  // 00000000ED8C: D100003D 00927B1C
	v_cmp_lt_u32_e64 s[36:37], v225, v29                       // 00000000ED94: D0C90024 00023BE1
	v_add_u32_e32 v225, 8, v225                                // 00000000ED9C: 69C3C288
	s_nop 0                                                    // 00000000EDA0: BF800000
	v_cndmask_b32_e64 v62, v28, v62, s[36:37]                  // 00000000EDA4: D100003E 00927D1C
	v_cmp_lt_u32_e64 s[36:37], v226, v29                       // 00000000EDAC: D0C90024 00023BE2
	v_add_u32_e32 v226, 8, v226                                // 00000000EDB4: 69C5C488
	s_nop 0                                                    // 00000000EDB8: BF800000
	v_cndmask_b32_e64 v63, v28, v63, s[36:37]                  // 00000000EDBC: D100003F 00927F1C
	s_cmp_le_i32 s83, s82                                      // 00000000EDC4: BF055253
	s_cbranch_scc1 label_CD1C                                  // 00000000EDC8: BF8500D4
	v_mov_b32_e32 v28, s82                                     // 00000000EDCC: 7E380252
	s_cmp_eq_i32 s81, 1                                        // 00000000EDD0: BF008151
	s_cbranch_scc1 label_C9F8                                  // 00000000EDD4: BF850008
	s_cmp_eq_i32 s81, 2                                        // 00000000EDD8: BF008251
	s_cbranch_scc1 label_C9EC                                  // 00000000EDDC: BF850003
	v_add_i32 v28, s7, v28                                     // 00000000EDE0: D29C001C 00023807
	s_branch label_C9F8                                        // 00000000EDE8: BF820003

000000000000edec <label_C9EC>:
	s_lshr_b32 s56, s7, 1                                      // 00000000EDEC: 8F388107
	v_add_u32_e32 v28, s56, v28                                // 00000000EDF0: 68383838
	s_branch label_C9F8                                        // 00000000EDF4: BF820000

000000000000edf8 <label_C9F8>:
	s_sub_u32 s56, s83, 63                                     // 00000000EDF8: 80B8BF53
	v_lshrrev_b32_e32 v223, 5, v0                              // 00000000EDFC: 21BE0085
	v_mul_i32_i24_e32 v223, 4, v223                            // 00000000EE00: 0DBFBE84
	v_add_u32_e32 v223, s56, v223                              // 00000000EE04: 69BFBE38
	v_add_u32_e32 v224, 1, v223                                // 00000000EE08: 69C1BE81
	v_add_u32_e32 v225, 2, v223                                // 00000000EE0C: 69C3BE82
	v_add_u32_e32 v226, 3, v223                                // 00000000EE10: 69C5BE83
	v_mov_b32_e32 v31, 0xff800000                              // 00000000EE14: 7E3E02FF FF800000
	v_cmp_le_i32_e64 s[36:37], v223, v28                       // 00000000EE1C: D0C30024 000239DF
	s_nop 0                                                    // 00000000EE24: BF800000
	v_cndmask_b32_e64 v32, v31, v32, s[36:37]                  // 00000000EE28: D1000020 0092411F
	v_add_u32_e32 v223, 8, v223                                // 00000000EE30: 69BFBE88
	v_cmp_le_i32_e64 s[36:37], v224, v28                       // 00000000EE34: D0C30024 000239E0
	s_nop 0                                                    // 00000000EE3C: BF800000
	v_cndmask_b32_e64 v33, v31, v33, s[36:37]                  // 00000000EE40: D1000021 0092431F
	v_add_u32_e32 v224, 8, v224                                // 00000000EE48: 69C1C088
	v_cmp_le_i32_e64 s[36:37], v225, v28                       // 00000000EE4C: D0C30024 000239E1
	s_nop 0                                                    // 00000000EE54: BF800000
	v_cndmask_b32_e64 v34, v31, v34, s[36:37]                  // 00000000EE58: D1000022 0092451F
	v_add_u32_e32 v225, 8, v225                                // 00000000EE60: 69C3C288
	v_cmp_le_i32_e64 s[36:37], v226, v28                       // 00000000EE64: D0C30024 000239E2
	s_nop 0                                                    // 00000000EE6C: BF800000
	v_cndmask_b32_e64 v35, v31, v35, s[36:37]                  // 00000000EE70: D1000023 0092471F
	v_add_u32_e32 v226, 8, v226                                // 00000000EE78: 69C5C488
	v_cmp_le_i32_e64 s[36:37], v223, v28                       // 00000000EE7C: D0C30024 000239DF
	s_nop 0                                                    // 00000000EE84: BF800000
	v_cndmask_b32_e64 v36, v31, v36, s[36:37]                  // 00000000EE88: D1000024 0092491F
	v_add_u32_e32 v223, 8, v223                                // 00000000EE90: 69BFBE88
	v_cmp_le_i32_e64 s[36:37], v224, v28                       // 00000000EE94: D0C30024 000239E0
	s_nop 0                                                    // 00000000EE9C: BF800000
	v_cndmask_b32_e64 v37, v31, v37, s[36:37]                  // 00000000EEA0: D1000025 00924B1F
	v_add_u32_e32 v224, 8, v224                                // 00000000EEA8: 69C1C088
	v_cmp_le_i32_e64 s[36:37], v225, v28                       // 00000000EEAC: D0C30024 000239E1
	s_nop 0                                                    // 00000000EEB4: BF800000
	v_cndmask_b32_e64 v38, v31, v38, s[36:37]                  // 00000000EEB8: D1000026 00924D1F
	v_add_u32_e32 v225, 8, v225                                // 00000000EEC0: 69C3C288
	v_cmp_le_i32_e64 s[36:37], v226, v28                       // 00000000EEC4: D0C30024 000239E2
	s_nop 0                                                    // 00000000EECC: BF800000
	v_cndmask_b32_e64 v39, v31, v39, s[36:37]                  // 00000000EED0: D1000027 00924F1F
	v_add_u32_e32 v226, 8, v226                                // 00000000EED8: 69C5C488
	v_cmp_le_i32_e64 s[36:37], v223, v28                       // 00000000EEDC: D0C30024 000239DF
	s_nop 0                                                    // 00000000EEE4: BF800000
	v_cndmask_b32_e64 v40, v31, v40, s[36:37]                  // 00000000EEE8: D1000028 0092511F
	v_add_u32_e32 v223, 8, v223                                // 00000000EEF0: 69BFBE88
	v_cmp_le_i32_e64 s[36:37], v224, v28                       // 00000000EEF4: D0C30024 000239E0
	s_nop 0                                                    // 00000000EEFC: BF800000
	v_cndmask_b32_e64 v41, v31, v41, s[36:37]                  // 00000000EF00: D1000029 0092531F
	v_add_u32_e32 v224, 8, v224                                // 00000000EF08: 69C1C088
	v_cmp_le_i32_e64 s[36:37], v225, v28                       // 00000000EF0C: D0C30024 000239E1
	s_nop 0                                                    // 00000000EF14: BF800000
	v_cndmask_b32_e64 v42, v31, v42, s[36:37]                  // 00000000EF18: D100002A 0092551F
	v_add_u32_e32 v225, 8, v225                                // 00000000EF20: 69C3C288
	v_cmp_le_i32_e64 s[36:37], v226, v28                       // 00000000EF24: D0C30024 000239E2
	s_nop 0                                                    // 00000000EF2C: BF800000
	v_cndmask_b32_e64 v43, v31, v43, s[36:37]                  // 00000000EF30: D100002B 0092571F
	v_add_u32_e32 v226, 8, v226                                // 00000000EF38: 69C5C488
	v_cmp_le_i32_e64 s[36:37], v223, v28                       // 00000000EF3C: D0C30024 000239DF
	s_nop 0                                                    // 00000000EF44: BF800000
	v_cndmask_b32_e64 v44, v31, v44, s[36:37]                  // 00000000EF48: D100002C 0092591F
	v_add_u32_e32 v223, 8, v223                                // 00000000EF50: 69BFBE88
	v_cmp_le_i32_e64 s[36:37], v224, v28                       // 00000000EF54: D0C30024 000239E0
	s_nop 0                                                    // 00000000EF5C: BF800000
	v_cndmask_b32_e64 v45, v31, v45, s[36:37]                  // 00000000EF60: D100002D 00925B1F
	v_add_u32_e32 v224, 8, v224                                // 00000000EF68: 69C1C088
	v_cmp_le_i32_e64 s[36:37], v225, v28                       // 00000000EF6C: D0C30024 000239E1
	s_nop 0                                                    // 00000000EF74: BF800000
	v_cndmask_b32_e64 v46, v31, v46, s[36:37]                  // 00000000EF78: D100002E 00925D1F
	v_add_u32_e32 v225, 8, v225                                // 00000000EF80: 69C3C288
	v_cmp_le_i32_e64 s[36:37], v226, v28                       // 00000000EF84: D0C30024 000239E2
	s_nop 0                                                    // 00000000EF8C: BF800000
	v_cndmask_b32_e64 v47, v31, v47, s[36:37]                  // 00000000EF90: D100002F 00925F1F
	v_add_u32_e32 v226, 8, v226                                // 00000000EF98: 69C5C488
	v_cmp_le_i32_e64 s[36:37], v223, v28                       // 00000000EF9C: D0C30024 000239DF
	s_nop 0                                                    // 00000000EFA4: BF800000
	v_cndmask_b32_e64 v48, v31, v48, s[36:37]                  // 00000000EFA8: D1000030 0092611F
	v_add_u32_e32 v223, 8, v223                                // 00000000EFB0: 69BFBE88
	v_cmp_le_i32_e64 s[36:37], v224, v28                       // 00000000EFB4: D0C30024 000239E0
	s_nop 0                                                    // 00000000EFBC: BF800000
	v_cndmask_b32_e64 v49, v31, v49, s[36:37]                  // 00000000EFC0: D1000031 0092631F
	v_add_u32_e32 v224, 8, v224                                // 00000000EFC8: 69C1C088
	v_cmp_le_i32_e64 s[36:37], v225, v28                       // 00000000EFCC: D0C30024 000239E1
	s_nop 0                                                    // 00000000EFD4: BF800000
	v_cndmask_b32_e64 v50, v31, v50, s[36:37]                  // 00000000EFD8: D1000032 0092651F
	v_add_u32_e32 v225, 8, v225                                // 00000000EFE0: 69C3C288
	v_cmp_le_i32_e64 s[36:37], v226, v28                       // 00000000EFE4: D0C30024 000239E2
	s_nop 0                                                    // 00000000EFEC: BF800000
	v_cndmask_b32_e64 v51, v31, v51, s[36:37]                  // 00000000EFF0: D1000033 0092671F
	v_add_u32_e32 v226, 8, v226                                // 00000000EFF8: 69C5C488
	v_cmp_le_i32_e64 s[36:37], v223, v28                       // 00000000EFFC: D0C30024 000239DF
	s_nop 0                                                    // 00000000F004: BF800000
	v_cndmask_b32_e64 v52, v31, v52, s[36:37]                  // 00000000F008: D1000034 0092691F
	v_add_u32_e32 v223, 8, v223                                // 00000000F010: 69BFBE88
	v_cmp_le_i32_e64 s[36:37], v224, v28                       // 00000000F014: D0C30024 000239E0
	s_nop 0                                                    // 00000000F01C: BF800000
	v_cndmask_b32_e64 v53, v31, v53, s[36:37]                  // 00000000F020: D1000035 00926B1F
	v_add_u32_e32 v224, 8, v224                                // 00000000F028: 69C1C088
	v_cmp_le_i32_e64 s[36:37], v225, v28                       // 00000000F02C: D0C30024 000239E1
	s_nop 0                                                    // 00000000F034: BF800000
	v_cndmask_b32_e64 v54, v31, v54, s[36:37]                  // 00000000F038: D1000036 00926D1F
	v_add_u32_e32 v225, 8, v225                                // 00000000F040: 69C3C288
	v_cmp_le_i32_e64 s[36:37], v226, v28                       // 00000000F044: D0C30024 000239E2
	s_nop 0                                                    // 00000000F04C: BF800000
	v_cndmask_b32_e64 v55, v31, v55, s[36:37]                  // 00000000F050: D1000037 00926F1F
	v_add_u32_e32 v226, 8, v226                                // 00000000F058: 69C5C488
	v_cmp_le_i32_e64 s[36:37], v223, v28                       // 00000000F05C: D0C30024 000239DF
	s_nop 0                                                    // 00000000F064: BF800000
	v_cndmask_b32_e64 v56, v31, v56, s[36:37]                  // 00000000F068: D1000038 0092711F
	v_add_u32_e32 v223, 8, v223                                // 00000000F070: 69BFBE88
	v_cmp_le_i32_e64 s[36:37], v224, v28                       // 00000000F074: D0C30024 000239E0
	s_nop 0                                                    // 00000000F07C: BF800000
	v_cndmask_b32_e64 v57, v31, v57, s[36:37]                  // 00000000F080: D1000039 0092731F
	v_add_u32_e32 v224, 8, v224                                // 00000000F088: 69C1C088
	v_cmp_le_i32_e64 s[36:37], v225, v28                       // 00000000F08C: D0C30024 000239E1
	s_nop 0                                                    // 00000000F094: BF800000
	v_cndmask_b32_e64 v58, v31, v58, s[36:37]                  // 00000000F098: D100003A 0092751F
	v_add_u32_e32 v225, 8, v225                                // 00000000F0A0: 69C3C288
	v_cmp_le_i32_e64 s[36:37], v226, v28                       // 00000000F0A4: D0C30024 000239E2
	s_nop 0                                                    // 00000000F0AC: BF800000
	v_cndmask_b32_e64 v59, v31, v59, s[36:37]                  // 00000000F0B0: D100003B 0092771F
	v_add_u32_e32 v226, 8, v226                                // 00000000F0B8: 69C5C488
	v_cmp_le_i32_e64 s[36:37], v223, v28                       // 00000000F0BC: D0C30024 000239DF
	s_nop 0                                                    // 00000000F0C4: BF800000
	v_cndmask_b32_e64 v60, v31, v60, s[36:37]                  // 00000000F0C8: D100003C 0092791F
	v_add_u32_e32 v223, 8, v223                                // 00000000F0D0: 69BFBE88
	v_cmp_le_i32_e64 s[36:37], v224, v28                       // 00000000F0D4: D0C30024 000239E0
	s_nop 0                                                    // 00000000F0DC: BF800000
	v_cndmask_b32_e64 v61, v31, v61, s[36:37]                  // 00000000F0E0: D100003D 00927B1F
	v_add_u32_e32 v224, 8, v224                                // 00000000F0E8: 69C1C088
	v_cmp_le_i32_e64 s[36:37], v225, v28                       // 00000000F0EC: D0C30024 000239E1
	s_nop 0                                                    // 00000000F0F4: BF800000
	v_cndmask_b32_e64 v62, v31, v62, s[36:37]                  // 00000000F0F8: D100003E 00927D1F
	v_add_u32_e32 v225, 8, v225                                // 00000000F100: 69C3C288
	v_cmp_le_i32_e64 s[36:37], v226, v28                       // 00000000F104: D0C30024 000239E2
	s_nop 0                                                    // 00000000F10C: BF800000
	v_cndmask_b32_e64 v63, v31, v63, s[36:37]                  // 00000000F110: D100003F 00927F1F
	v_add_u32_e32 v226, 8, v226                                // 00000000F118: 69C5C488

000000000000f11c <label_CD1C>:
	s_add_u32 s83, s84, s83                                    // 00000000F11C: 80535354
	s_nop 2                                                    // 00000000F120: BF800002
	v_mov_b32_e32 v29, v32                                     // 00000000F124: 7E3A0320
	v_max3_f32 v29, v32, v33, v29                              // 00000000F128: D1D3001D 04764320
	v_max3_f32 v29, v34, v35, v29                              // 00000000F130: D1D3001D 04764722
	v_max3_f32 v29, v36, v37, v29                              // 00000000F138: D1D3001D 04764B24
	v_max3_f32 v29, v38, v39, v29                              // 00000000F140: D1D3001D 04764F26
	v_max3_f32 v29, v40, v41, v29                              // 00000000F148: D1D3001D 04765328
	v_max3_f32 v29, v42, v43, v29                              // 00000000F150: D1D3001D 0476572A
	v_max3_f32 v29, v44, v45, v29                              // 00000000F158: D1D3001D 04765B2C
	v_max3_f32 v29, v46, v47, v29                              // 00000000F160: D1D3001D 04765F2E
	v_max3_f32 v29, v48, v49, v29                              // 00000000F168: D1D3001D 04766330
	v_max3_f32 v29, v50, v51, v29                              // 00000000F170: D1D3001D 04766732
	v_max3_f32 v29, v52, v53, v29                              // 00000000F178: D1D3001D 04766B34
	v_max3_f32 v29, v54, v55, v29                              // 00000000F180: D1D3001D 04766F36
	v_max3_f32 v29, v56, v57, v29                              // 00000000F188: D1D3001D 04767338
	v_max3_f32 v29, v58, v59, v29                              // 00000000F190: D1D3001D 0476773A
	v_max3_f32 v29, v60, v61, v29                              // 00000000F198: D1D3001D 04767B3C
	v_max3_f32 v29, v62, v63, v29                              // 00000000F1A0: D1D3001D 04767F3E
	v_mov_b32_e32 v28, v29                                     // 00000000F1A8: 7E38031D
	v_mov_b32_e32 v29, v29                                     // 00000000F1AC: 7E3A031D
	s_nop 1                                                    // 00000000F1B0: BF800001
	v_permlane32_swap_b32_e32 v28, v29                         // 00000000F1B4: 7E38B51D
	v_max3_f32 v29, v28, v29, v29                              // 00000000F1B8: D1D3001D 04763B1C
	v_mov_b32_e32 v28, 0xff800000                              // 00000000F1C0: 7E3802FF FF800000
	v_cmp_eq_u32_e64 s[36:37], v28, v2                         // 00000000F1C8: D0CA0024 0002051C
	v_max_f32_e32 v29, v29, v2                                 // 00000000F1D0: 163A051D
	v_sub_f32_e32 v17, v2, v29                                 // 00000000F1D4: 04223B02
	v_cndmask_b32_e64 v17, v17, 0, s[36:37]                    // 00000000F1D8: D1000011 00910111
	v_mov_b32_e32 v2, v29                                      // 00000000F1E0: 7E04031D
	v_mul_f32_e32 v29, s5, v29                                 // 00000000F1E4: 0A3A3A05
	v_mul_f32_e32 v17, s5, v17                                 // 00000000F1E8: 0A222205
	v_exp_f32_e32 v17, v17                                     // 00000000F1EC: 7E224111
	v_fma_f32 v32, v32, s5, -v29                               // 00000000F1F0: D1CB0020 84740B20
	v_fma_f32 v33, v33, s5, -v29                               // 00000000F1F8: D1CB0021 84740B21
	v_fma_f32 v34, v34, s5, -v29                               // 00000000F200: D1CB0022 84740B22
	v_fma_f32 v35, v35, s5, -v29                               // 00000000F208: D1CB0023 84740B23
	v_fma_f32 v36, v36, s5, -v29                               // 00000000F210: D1CB0024 84740B24
	v_fma_f32 v37, v37, s5, -v29                               // 00000000F218: D1CB0025 84740B25
	v_fma_f32 v38, v38, s5, -v29                               // 00000000F220: D1CB0026 84740B26
	v_fma_f32 v39, v39, s5, -v29                               // 00000000F228: D1CB0027 84740B27
	v_fma_f32 v40, v40, s5, -v29                               // 00000000F230: D1CB0028 84740B28
	v_fma_f32 v41, v41, s5, -v29                               // 00000000F238: D1CB0029 84740B29
	v_fma_f32 v42, v42, s5, -v29                               // 00000000F240: D1CB002A 84740B2A
	v_fma_f32 v43, v43, s5, -v29                               // 00000000F248: D1CB002B 84740B2B
	v_fma_f32 v44, v44, s5, -v29                               // 00000000F250: D1CB002C 84740B2C
	v_fma_f32 v45, v45, s5, -v29                               // 00000000F258: D1CB002D 84740B2D
	v_fma_f32 v46, v46, s5, -v29                               // 00000000F260: D1CB002E 84740B2E
	v_fma_f32 v47, v47, s5, -v29                               // 00000000F268: D1CB002F 84740B2F
	v_fma_f32 v48, v48, s5, -v29                               // 00000000F270: D1CB0030 84740B30
	v_fma_f32 v49, v49, s5, -v29                               // 00000000F278: D1CB0031 84740B31
	v_fma_f32 v50, v50, s5, -v29                               // 00000000F280: D1CB0032 84740B32
	v_fma_f32 v51, v51, s5, -v29                               // 00000000F288: D1CB0033 84740B33
	v_fma_f32 v52, v52, s5, -v29                               // 00000000F290: D1CB0034 84740B34
	v_fma_f32 v53, v53, s5, -v29                               // 00000000F298: D1CB0035 84740B35
	v_fma_f32 v54, v54, s5, -v29                               // 00000000F2A0: D1CB0036 84740B36
	v_fma_f32 v55, v55, s5, -v29                               // 00000000F2A8: D1CB0037 84740B37
	v_fma_f32 v56, v56, s5, -v29                               // 00000000F2B0: D1CB0038 84740B38
	v_fma_f32 v57, v57, s5, -v29                               // 00000000F2B8: D1CB0039 84740B39
	v_fma_f32 v58, v58, s5, -v29                               // 00000000F2C0: D1CB003A 84740B3A
	v_fma_f32 v59, v59, s5, -v29                               // 00000000F2C8: D1CB003B 84740B3B
	v_fma_f32 v60, v60, s5, -v29                               // 00000000F2D0: D1CB003C 84740B3C
	v_fma_f32 v61, v61, s5, -v29                               // 00000000F2D8: D1CB003D 84740B3D
	v_fma_f32 v62, v62, s5, -v29                               // 00000000F2E0: D1CB003E 84740B3E
	v_fma_f32 v63, v63, s5, -v29                               // 00000000F2E8: D1CB003F 84740B3F
	v_exp_f32_e32 v32, v32                                     // 00000000F2F0: 7E404120
	v_exp_f32_e32 v33, v33                                     // 00000000F2F4: 7E424121
	v_exp_f32_e32 v34, v34                                     // 00000000F2F8: 7E444122
	v_exp_f32_e32 v35, v35                                     // 00000000F2FC: 7E464123
	v_exp_f32_e32 v36, v36                                     // 00000000F300: 7E484124
	v_exp_f32_e32 v37, v37                                     // 00000000F304: 7E4A4125
	v_exp_f32_e32 v38, v38                                     // 00000000F308: 7E4C4126
	v_exp_f32_e32 v39, v39                                     // 00000000F30C: 7E4E4127
	v_exp_f32_e32 v40, v40                                     // 00000000F310: 7E504128
	v_exp_f32_e32 v41, v41                                     // 00000000F314: 7E524129
	v_exp_f32_e32 v42, v42                                     // 00000000F318: 7E54412A
	v_exp_f32_e32 v43, v43                                     // 00000000F31C: 7E56412B
	v_exp_f32_e32 v44, v44                                     // 00000000F320: 7E58412C
	v_exp_f32_e32 v45, v45                                     // 00000000F324: 7E5A412D
	v_exp_f32_e32 v46, v46                                     // 00000000F328: 7E5C412E
	v_exp_f32_e32 v47, v47                                     // 00000000F32C: 7E5E412F
	v_exp_f32_e32 v48, v48                                     // 00000000F330: 7E604130
	v_exp_f32_e32 v49, v49                                     // 00000000F334: 7E624131
	v_exp_f32_e32 v50, v50                                     // 00000000F338: 7E644132
	v_exp_f32_e32 v51, v51                                     // 00000000F33C: 7E664133
	v_exp_f32_e32 v52, v52                                     // 00000000F340: 7E684134
	v_exp_f32_e32 v53, v53                                     // 00000000F344: 7E6A4135
	v_exp_f32_e32 v54, v54                                     // 00000000F348: 7E6C4136
	v_exp_f32_e32 v55, v55                                     // 00000000F34C: 7E6E4137
	v_exp_f32_e32 v56, v56                                     // 00000000F350: 7E704138
	v_exp_f32_e32 v57, v57                                     // 00000000F354: 7E724139
	v_exp_f32_e32 v58, v58                                     // 00000000F358: 7E74413A
	v_exp_f32_e32 v59, v59                                     // 00000000F35C: 7E76413B
	v_exp_f32_e32 v60, v60                                     // 00000000F360: 7E78413C
	v_exp_f32_e32 v61, v61                                     // 00000000F364: 7E7A413D
	v_exp_f32_e32 v62, v62                                     // 00000000F368: 7E7C413E
	v_exp_f32_e32 v63, v63                                     // 00000000F36C: 7E7E413F
	v_mul_f32_e32 v4, v17, v4                                  // 00000000F370: 0A080911
	v_mov_b32_e32 v28, v32                                     // 00000000F374: 7E380320
	v_add_f32_e32 v28, v33, v28                                // 00000000F378: 02383921
	v_add_f32_e32 v28, v34, v28                                // 00000000F37C: 02383922
	v_add_f32_e32 v28, v35, v28                                // 00000000F380: 02383923
	v_add_f32_e32 v28, v36, v28                                // 00000000F384: 02383924
	v_add_f32_e32 v28, v37, v28                                // 00000000F388: 02383925
	v_add_f32_e32 v28, v38, v28                                // 00000000F38C: 02383926
	v_add_f32_e32 v28, v39, v28                                // 00000000F390: 02383927
	v_add_f32_e32 v28, v40, v28                                // 00000000F394: 02383928
	v_add_f32_e32 v28, v41, v28                                // 00000000F398: 02383929
	v_add_f32_e32 v28, v42, v28                                // 00000000F39C: 0238392A
	v_add_f32_e32 v28, v43, v28                                // 00000000F3A0: 0238392B
	v_add_f32_e32 v28, v44, v28                                // 00000000F3A4: 0238392C
	v_add_f32_e32 v28, v45, v28                                // 00000000F3A8: 0238392D
	v_add_f32_e32 v28, v46, v28                                // 00000000F3AC: 0238392E
	v_add_f32_e32 v28, v47, v28                                // 00000000F3B0: 0238392F
	v_add_f32_e32 v28, v48, v28                                // 00000000F3B4: 02383930
	v_add_f32_e32 v28, v49, v28                                // 00000000F3B8: 02383931
	v_add_f32_e32 v28, v50, v28                                // 00000000F3BC: 02383932
	v_add_f32_e32 v28, v51, v28                                // 00000000F3C0: 02383933
	v_add_f32_e32 v28, v52, v28                                // 00000000F3C4: 02383934
	v_add_f32_e32 v28, v53, v28                                // 00000000F3C8: 02383935
	v_add_f32_e32 v28, v54, v28                                // 00000000F3CC: 02383936
	v_add_f32_e32 v28, v55, v28                                // 00000000F3D0: 02383937
	v_add_f32_e32 v28, v56, v28                                // 00000000F3D4: 02383938
	v_add_f32_e32 v28, v57, v28                                // 00000000F3D8: 02383939
	v_add_f32_e32 v28, v58, v28                                // 00000000F3DC: 0238393A
	v_add_f32_e32 v28, v59, v28                                // 00000000F3E0: 0238393B
	v_add_f32_e32 v28, v60, v28                                // 00000000F3E4: 0238393C
	v_add_f32_e32 v28, v61, v28                                // 00000000F3E8: 0238393D
	v_add_f32_e32 v28, v62, v28                                // 00000000F3EC: 0238393E
	v_add_f32_e32 v28, v63, v28                                // 00000000F3F0: 0238393F
	v_add_f32_e32 v4, v28, v4                                  // 00000000F3F4: 0208091C
	v_cvt_pk_fp8_f32 v32, v32, v33                             // 00000000F3F8: D2A20020 00024320
	v_cvt_pk_fp8_f32 v32, v34, v35 op_sel:[0,0,1]              // 00000000F400: D2A24020 00024722
	v_cvt_pk_fp8_f32 v33, v36, v37                             // 00000000F408: D2A20021 00024B24
	v_cvt_pk_fp8_f32 v33, v38, v39 op_sel:[0,0,1]              // 00000000F410: D2A24021 00024F26
	v_cvt_pk_fp8_f32 v34, v40, v41                             // 00000000F418: D2A20022 00025328
	v_cvt_pk_fp8_f32 v34, v42, v43 op_sel:[0,0,1]              // 00000000F420: D2A24022 0002572A
	v_cvt_pk_fp8_f32 v35, v44, v45                             // 00000000F428: D2A20023 00025B2C
	v_cvt_pk_fp8_f32 v35, v46, v47 op_sel:[0,0,1]              // 00000000F430: D2A24023 00025F2E
	v_cvt_pk_fp8_f32 v36, v48, v49                             // 00000000F438: D2A20024 00026330
	v_cvt_pk_fp8_f32 v36, v50, v51 op_sel:[0,0,1]              // 00000000F440: D2A24024 00026732
	v_cvt_pk_fp8_f32 v37, v52, v53                             // 00000000F448: D2A20025 00026B34
	v_cvt_pk_fp8_f32 v37, v54, v55 op_sel:[0,0,1]              // 00000000F450: D2A24025 00026F36
	v_cvt_pk_fp8_f32 v38, v56, v57                             // 00000000F458: D2A20026 00027338
	v_cvt_pk_fp8_f32 v38, v58, v59 op_sel:[0,0,1]              // 00000000F460: D2A24026 0002773A
	v_cvt_pk_fp8_f32 v39, v60, v61                             // 00000000F468: D2A20027 00027B3C
	v_cvt_pk_fp8_f32 v39, v62, v63 op_sel:[0,0,1]              // 00000000F470: D2A24027 00027F3E
	v_permlane32_swap_b32_e32 v32, v34                         // 00000000F478: 7E40B522
	v_permlane32_swap_b32_e32 v33, v35                         // 00000000F47C: 7E42B523
	v_swap_b32 v33, v34                                        // 00000000F480: 7E42A322
	v_permlane32_swap_b32_e32 v36, v38                         // 00000000F484: 7E48B526
	v_permlane32_swap_b32_e32 v37, v39                         // 00000000F488: 7E4AB527
	v_swap_b32 v37, v38                                        // 00000000F48C: 7E4AA326
	v_mov_b32_e32 v28, v17                                     // 00000000F490: 7E380311
	v_mul_f32_e32 v64, v28, v64                                // 00000000F494: 0A80811C
	v_mul_f32_e32 v65, v28, v65                                // 00000000F498: 0A82831C
	v_mul_f32_e32 v66, v28, v66                                // 00000000F49C: 0A84851C
	v_mul_f32_e32 v67, v28, v67                                // 00000000F4A0: 0A86871C
	v_mul_f32_e32 v68, v28, v68                                // 00000000F4A4: 0A88891C
	v_mul_f32_e32 v69, v28, v69                                // 00000000F4A8: 0A8A8B1C
	v_mul_f32_e32 v70, v28, v70                                // 00000000F4AC: 0A8C8D1C
	v_mul_f32_e32 v71, v28, v71                                // 00000000F4B0: 0A8E8F1C
	v_mul_f32_e32 v72, v28, v72                                // 00000000F4B4: 0A90911C
	v_mul_f32_e32 v73, v28, v73                                // 00000000F4B8: 0A92931C
	v_mul_f32_e32 v74, v28, v74                                // 00000000F4BC: 0A94951C
	v_mul_f32_e32 v75, v28, v75                                // 00000000F4C0: 0A96971C
	v_mul_f32_e32 v76, v28, v76                                // 00000000F4C4: 0A98991C
	v_mul_f32_e32 v77, v28, v77                                // 00000000F4C8: 0A9A9B1C
	v_mul_f32_e32 v78, v28, v78                                // 00000000F4CC: 0A9C9D1C
	v_mul_f32_e32 v79, v28, v79                                // 00000000F4D0: 0A9E9F1C
	v_mul_f32_e32 v80, v28, v80                                // 00000000F4D4: 0AA0A11C
	v_mul_f32_e32 v81, v28, v81                                // 00000000F4D8: 0AA2A31C
	v_mul_f32_e32 v82, v28, v82                                // 00000000F4DC: 0AA4A51C
	v_mul_f32_e32 v83, v28, v83                                // 00000000F4E0: 0AA6A71C
	v_mul_f32_e32 v84, v28, v84                                // 00000000F4E4: 0AA8A91C
	v_mul_f32_e32 v85, v28, v85                                // 00000000F4E8: 0AAAAB1C
	v_mul_f32_e32 v86, v28, v86                                // 00000000F4EC: 0AACAD1C
	v_mul_f32_e32 v87, v28, v87                                // 00000000F4F0: 0AAEAF1C
	v_mul_f32_e32 v88, v28, v88                                // 00000000F4F4: 0AB0B11C
	v_mul_f32_e32 v89, v28, v89                                // 00000000F4F8: 0AB2B31C
	v_mul_f32_e32 v90, v28, v90                                // 00000000F4FC: 0AB4B51C
	v_mul_f32_e32 v91, v28, v91                                // 00000000F500: 0AB6B71C
	v_mul_f32_e32 v92, v28, v92                                // 00000000F504: 0AB8B91C
	v_mul_f32_e32 v93, v28, v93                                // 00000000F508: 0ABABB1C
	v_mul_f32_e32 v94, v28, v94                                // 00000000F50C: 0ABCBD1C
	v_mul_f32_e32 v95, v28, v95                                // 00000000F510: 0ABEBF1C
	v_mul_f32_e32 v96, v28, v96                                // 00000000F514: 0AC0C11C
	v_mul_f32_e32 v97, v28, v97                                // 00000000F518: 0AC2C31C
	v_mul_f32_e32 v98, v28, v98                                // 00000000F51C: 0AC4C51C
	v_mul_f32_e32 v99, v28, v99                                // 00000000F520: 0AC6C71C
	v_mul_f32_e32 v100, v28, v100                              // 00000000F524: 0AC8C91C
	v_mul_f32_e32 v101, v28, v101                              // 00000000F528: 0ACACB1C
	v_mul_f32_e32 v102, v28, v102                              // 00000000F52C: 0ACCCD1C
	v_mul_f32_e32 v103, v28, v103                              // 00000000F530: 0ACECF1C
	v_mul_f32_e32 v104, v28, v104                              // 00000000F534: 0AD0D11C
	v_mul_f32_e32 v105, v28, v105                              // 00000000F538: 0AD2D31C
	v_mul_f32_e32 v106, v28, v106                              // 00000000F53C: 0AD4D51C
	v_mul_f32_e32 v107, v28, v107                              // 00000000F540: 0AD6D71C
	v_mul_f32_e32 v108, v28, v108                              // 00000000F544: 0AD8D91C
	v_mul_f32_e32 v109, v28, v109                              // 00000000F548: 0ADADB1C
	v_mul_f32_e32 v110, v28, v110                              // 00000000F54C: 0ADCDD1C
	v_mul_f32_e32 v111, v28, v111                              // 00000000F550: 0ADEDF1C
	v_mul_f32_e32 v112, v28, v112                              // 00000000F554: 0AE0E11C
	v_mul_f32_e32 v113, v28, v113                              // 00000000F558: 0AE2E31C
	v_mul_f32_e32 v114, v28, v114                              // 00000000F55C: 0AE4E51C
	v_mul_f32_e32 v115, v28, v115                              // 00000000F560: 0AE6E71C
	v_mul_f32_e32 v116, v28, v116                              // 00000000F564: 0AE8E91C
	v_mul_f32_e32 v117, v28, v117                              // 00000000F568: 0AEAEB1C
	v_mul_f32_e32 v118, v28, v118                              // 00000000F56C: 0AECED1C
	v_mul_f32_e32 v119, v28, v119                              // 00000000F570: 0AEEEF1C
	v_mul_f32_e32 v120, v28, v120                              // 00000000F574: 0AF0F11C
	v_mul_f32_e32 v121, v28, v121                              // 00000000F578: 0AF2F31C
	v_mul_f32_e32 v122, v28, v122                              // 00000000F57C: 0AF4F51C
	v_mul_f32_e32 v123, v28, v123                              // 00000000F580: 0AF6F71C
	v_mul_f32_e32 v124, v28, v124                              // 00000000F584: 0AF8F91C
	v_mul_f32_e32 v125, v28, v125                              // 00000000F588: 0AFAFB1C
	v_mul_f32_e32 v126, v28, v126                              // 00000000F58C: 0AFCFD1C
	v_mul_f32_e32 v127, v28, v127                              // 00000000F590: 0AFEFF1C
	v_mul_f32_e32 v128, v28, v128                              // 00000000F594: 0B01011C
	v_mul_f32_e32 v129, v28, v129                              // 00000000F598: 0B03031C
	v_mul_f32_e32 v130, v28, v130                              // 00000000F59C: 0B05051C
	v_mul_f32_e32 v131, v28, v131                              // 00000000F5A0: 0B07071C
	v_mul_f32_e32 v132, v28, v132                              // 00000000F5A4: 0B09091C
	v_mul_f32_e32 v133, v28, v133                              // 00000000F5A8: 0B0B0B1C
	v_mul_f32_e32 v134, v28, v134                              // 00000000F5AC: 0B0D0D1C
	v_mul_f32_e32 v135, v28, v135                              // 00000000F5B0: 0B0F0F1C
	v_mul_f32_e32 v136, v28, v136                              // 00000000F5B4: 0B11111C
	v_mul_f32_e32 v137, v28, v137                              // 00000000F5B8: 0B13131C
	v_mul_f32_e32 v138, v28, v138                              // 00000000F5BC: 0B15151C
	v_mul_f32_e32 v139, v28, v139                              // 00000000F5C0: 0B17171C
	v_mul_f32_e32 v140, v28, v140                              // 00000000F5C4: 0B19191C
	v_mul_f32_e32 v141, v28, v141                              // 00000000F5C8: 0B1B1B1C
	v_mul_f32_e32 v142, v28, v142                              // 00000000F5CC: 0B1D1D1C
	v_mul_f32_e32 v143, v28, v143                              // 00000000F5D0: 0B1F1F1C
	v_mul_f32_e32 v144, v28, v144                              // 00000000F5D4: 0B21211C
	v_mul_f32_e32 v145, v28, v145                              // 00000000F5D8: 0B23231C
	v_mul_f32_e32 v146, v28, v146                              // 00000000F5DC: 0B25251C
	v_mul_f32_e32 v147, v28, v147                              // 00000000F5E0: 0B27271C
	v_mul_f32_e32 v148, v28, v148                              // 00000000F5E4: 0B29291C
	v_mul_f32_e32 v149, v28, v149                              // 00000000F5E8: 0B2B2B1C
	v_mul_f32_e32 v150, v28, v150                              // 00000000F5EC: 0B2D2D1C
	v_mul_f32_e32 v151, v28, v151                              // 00000000F5F0: 0B2F2F1C
	v_mul_f32_e32 v152, v28, v152                              // 00000000F5F4: 0B31311C
	v_mul_f32_e32 v153, v28, v153                              // 00000000F5F8: 0B33331C
	v_mul_f32_e32 v154, v28, v154                              // 00000000F5FC: 0B35351C
	v_mul_f32_e32 v155, v28, v155                              // 00000000F600: 0B37371C
	v_mul_f32_e32 v156, v28, v156                              // 00000000F604: 0B39391C
	v_mul_f32_e32 v157, v28, v157                              // 00000000F608: 0B3B3B1C
	v_mul_f32_e32 v158, v28, v158                              // 00000000F60C: 0B3D3D1C
	v_mul_f32_e32 v159, v28, v159                              // 00000000F610: 0B3F3F1C
	v_mul_f32_e32 v160, v28, v160                              // 00000000F614: 0B41411C
	v_mul_f32_e32 v161, v28, v161                              // 00000000F618: 0B43431C
	v_mul_f32_e32 v162, v28, v162                              // 00000000F61C: 0B45451C
	v_mul_f32_e32 v163, v28, v163                              // 00000000F620: 0B47471C
	v_mul_f32_e32 v164, v28, v164                              // 00000000F624: 0B49491C
	v_mul_f32_e32 v165, v28, v165                              // 00000000F628: 0B4B4B1C
	v_mul_f32_e32 v166, v28, v166                              // 00000000F62C: 0B4D4D1C
	v_mul_f32_e32 v167, v28, v167                              // 00000000F630: 0B4F4F1C
	v_mul_f32_e32 v168, v28, v168                              // 00000000F634: 0B51511C
	v_mul_f32_e32 v169, v28, v169                              // 00000000F638: 0B53531C
	v_mul_f32_e32 v170, v28, v170                              // 00000000F63C: 0B55551C
	v_mul_f32_e32 v171, v28, v171                              // 00000000F640: 0B57571C
	v_mul_f32_e32 v172, v28, v172                              // 00000000F644: 0B59591C
	v_mul_f32_e32 v173, v28, v173                              // 00000000F648: 0B5B5B1C
	v_mul_f32_e32 v174, v28, v174                              // 00000000F64C: 0B5D5D1C
	v_mul_f32_e32 v175, v28, v175                              // 00000000F650: 0B5F5F1C
	v_mul_f32_e32 v176, v28, v176                              // 00000000F654: 0B61611C
	v_mul_f32_e32 v177, v28, v177                              // 00000000F658: 0B63631C
	v_mul_f32_e32 v178, v28, v178                              // 00000000F65C: 0B65651C
	v_mul_f32_e32 v179, v28, v179                              // 00000000F660: 0B67671C
	v_mul_f32_e32 v180, v28, v180                              // 00000000F664: 0B69691C
	v_mul_f32_e32 v181, v28, v181                              // 00000000F668: 0B6B6B1C
	v_mul_f32_e32 v182, v28, v182                              // 00000000F66C: 0B6D6D1C
	v_mul_f32_e32 v183, v28, v183                              // 00000000F670: 0B6F6F1C
	v_mul_f32_e32 v184, v28, v184                              // 00000000F674: 0B71711C
	v_mul_f32_e32 v185, v28, v185                              // 00000000F678: 0B73731C
	v_mul_f32_e32 v186, v28, v186                              // 00000000F67C: 0B75751C
	v_mul_f32_e32 v187, v28, v187                              // 00000000F680: 0B77771C
	v_mul_f32_e32 v188, v28, v188                              // 00000000F684: 0B79791C
	v_mul_f32_e32 v189, v28, v189                              // 00000000F688: 0B7B7B1C
	v_mul_f32_e32 v190, v28, v190                              // 00000000F68C: 0B7D7D1C
	v_mul_f32_e32 v191, v28, v191                              // 00000000F690: 0B7F7F1C
	v_mul_f32_e32 v192, v28, v192                              // 00000000F694: 0B81811C
	v_mul_f32_e32 v193, v28, v193                              // 00000000F698: 0B83831C
	v_mul_f32_e32 v194, v28, v194                              // 00000000F69C: 0B85851C
	v_mul_f32_e32 v195, v28, v195                              // 00000000F6A0: 0B87871C
	v_mul_f32_e32 v196, v28, v196                              // 00000000F6A4: 0B89891C
	v_mul_f32_e32 v197, v28, v197                              // 00000000F6A8: 0B8B8B1C
	v_mul_f32_e32 v198, v28, v198                              // 00000000F6AC: 0B8D8D1C
	v_mul_f32_e32 v199, v28, v199                              // 00000000F6B0: 0B8F8F1C
	v_mul_f32_e32 v200, v28, v200                              // 00000000F6B4: 0B91911C
	v_mul_f32_e32 v201, v28, v201                              // 00000000F6B8: 0B93931C
	v_mul_f32_e32 v202, v28, v202                              // 00000000F6BC: 0B95951C
	v_mul_f32_e32 v203, v28, v203                              // 00000000F6C0: 0B97971C
	v_mul_f32_e32 v204, v28, v204                              // 00000000F6C4: 0B99991C
	v_mul_f32_e32 v205, v28, v205                              // 00000000F6C8: 0B9B9B1C
	v_mul_f32_e32 v206, v28, v206                              // 00000000F6CC: 0B9D9D1C
	v_mul_f32_e32 v207, v28, v207                              // 00000000F6D0: 0B9F9F1C
	v_mul_f32_e32 v208, v28, v208                              // 00000000F6D4: 0BA1A11C
	v_mul_f32_e32 v209, v28, v209                              // 00000000F6D8: 0BA3A31C
	v_mul_f32_e32 v210, v28, v210                              // 00000000F6DC: 0BA5A51C
	v_mul_f32_e32 v211, v28, v211                              // 00000000F6E0: 0BA7A71C
	v_mul_f32_e32 v212, v28, v212                              // 00000000F6E4: 0BA9A91C
	v_mul_f32_e32 v213, v28, v213                              // 00000000F6E8: 0BABAB1C
	v_mul_f32_e32 v214, v28, v214                              // 00000000F6EC: 0BADAD1C
	v_mul_f32_e32 v215, v28, v215                              // 00000000F6F0: 0BAFAF1C
	v_mul_f32_e32 v216, v28, v216                              // 00000000F6F4: 0BB1B11C
	v_mul_f32_e32 v217, v28, v217                              // 00000000F6F8: 0BB3B31C
	v_mul_f32_e32 v218, v28, v218                              // 00000000F6FC: 0BB5B51C
	v_mul_f32_e32 v219, v28, v219                              // 00000000F700: 0BB7B71C
	v_mul_f32_e32 v220, v28, v220                              // 00000000F704: 0BB9B91C
	v_mul_f32_e32 v221, v28, v221                              // 00000000F708: 0BBBBB1C
	v_mul_f32_e32 v222, v28, v222                              // 00000000F70C: 0BBDBD1C
	v_mul_f32_e32 v223, v28, v223                              // 00000000F710: 0BBFBF1C
	v_accvgpr_read_b32 v29, a144                               // 00000000F714: D3D8401D 18000190
	v_mul_f32_e32 v29, v28, v29                                // 00000000F71C: 0A3A3B1C
	v_accvgpr_write_b32 a144, v29                              // 00000000F720: D3D94090 1800011D
	v_accvgpr_read_b32 v29, a145                               // 00000000F728: D3D8401D 18000191
	v_mul_f32_e32 v29, v28, v29                                // 00000000F730: 0A3A3B1C
	v_accvgpr_write_b32 a145, v29                              // 00000000F734: D3D94091 1800011D
	v_accvgpr_read_b32 v29, a146                               // 00000000F73C: D3D8401D 18000192
	v_mul_f32_e32 v29, v28, v29                                // 00000000F744: 0A3A3B1C
	v_accvgpr_write_b32 a146, v29                              // 00000000F748: D3D94092 1800011D
	v_accvgpr_read_b32 v29, a147                               // 00000000F750: D3D8401D 18000193
	v_mul_f32_e32 v29, v28, v29                                // 00000000F758: 0A3A3B1C
	v_accvgpr_write_b32 a147, v29                              // 00000000F75C: D3D94093 1800011D
	v_accvgpr_read_b32 v29, a148                               // 00000000F764: D3D8401D 18000194
	v_mul_f32_e32 v29, v28, v29                                // 00000000F76C: 0A3A3B1C
	v_accvgpr_write_b32 a148, v29                              // 00000000F770: D3D94094 1800011D
	v_accvgpr_read_b32 v29, a149                               // 00000000F778: D3D8401D 18000195
	v_mul_f32_e32 v29, v28, v29                                // 00000000F780: 0A3A3B1C
	v_accvgpr_write_b32 a149, v29                              // 00000000F784: D3D94095 1800011D
	v_accvgpr_read_b32 v29, a150                               // 00000000F78C: D3D8401D 18000196
	v_mul_f32_e32 v29, v28, v29                                // 00000000F794: 0A3A3B1C
	v_accvgpr_write_b32 a150, v29                              // 00000000F798: D3D94096 1800011D
	v_accvgpr_read_b32 v29, a151                               // 00000000F7A0: D3D8401D 18000197
	v_mul_f32_e32 v29, v28, v29                                // 00000000F7A8: 0A3A3B1C
	v_accvgpr_write_b32 a151, v29                              // 00000000F7AC: D3D94097 1800011D
	v_accvgpr_read_b32 v29, a152                               // 00000000F7B4: D3D8401D 18000198
	v_mul_f32_e32 v29, v28, v29                                // 00000000F7BC: 0A3A3B1C
	v_accvgpr_write_b32 a152, v29                              // 00000000F7C0: D3D94098 1800011D
	v_accvgpr_read_b32 v29, a153                               // 00000000F7C8: D3D8401D 18000199
	v_mul_f32_e32 v29, v28, v29                                // 00000000F7D0: 0A3A3B1C
	v_accvgpr_write_b32 a153, v29                              // 00000000F7D4: D3D94099 1800011D
	v_accvgpr_read_b32 v29, a154                               // 00000000F7DC: D3D8401D 1800019A
	v_mul_f32_e32 v29, v28, v29                                // 00000000F7E4: 0A3A3B1C
	v_accvgpr_write_b32 a154, v29                              // 00000000F7E8: D3D9409A 1800011D
	v_accvgpr_read_b32 v29, a155                               // 00000000F7F0: D3D8401D 1800019B
	v_mul_f32_e32 v29, v28, v29                                // 00000000F7F8: 0A3A3B1C
	v_accvgpr_write_b32 a155, v29                              // 00000000F7FC: D3D9409B 1800011D
	v_accvgpr_read_b32 v29, a156                               // 00000000F804: D3D8401D 1800019C
	v_mul_f32_e32 v29, v28, v29                                // 00000000F80C: 0A3A3B1C
	v_accvgpr_write_b32 a156, v29                              // 00000000F810: D3D9409C 1800011D
	v_accvgpr_read_b32 v29, a157                               // 00000000F818: D3D8401D 1800019D
	v_mul_f32_e32 v29, v28, v29                                // 00000000F820: 0A3A3B1C
	v_accvgpr_write_b32 a157, v29                              // 00000000F824: D3D9409D 1800011D
	v_accvgpr_read_b32 v29, a158                               // 00000000F82C: D3D8401D 1800019E
	v_mul_f32_e32 v29, v28, v29                                // 00000000F834: 0A3A3B1C
	v_accvgpr_write_b32 a158, v29                              // 00000000F838: D3D9409E 1800011D
	v_accvgpr_read_b32 v29, a159                               // 00000000F840: D3D8401D 1800019F
	v_mul_f32_e32 v29, v28, v29                                // 00000000F848: 0A3A3B1C
	v_accvgpr_write_b32 a159, v29                              // 00000000F84C: D3D9409F 1800011D
	v_accvgpr_read_b32 v29, a160                               // 00000000F854: D3D8401D 180001A0
	v_mul_f32_e32 v29, v28, v29                                // 00000000F85C: 0A3A3B1C
	v_accvgpr_write_b32 a160, v29                              // 00000000F860: D3D940A0 1800011D
	v_accvgpr_read_b32 v29, a161                               // 00000000F868: D3D8401D 180001A1
	v_mul_f32_e32 v29, v28, v29                                // 00000000F870: 0A3A3B1C
	v_accvgpr_write_b32 a161, v29                              // 00000000F874: D3D940A1 1800011D
	v_accvgpr_read_b32 v29, a162                               // 00000000F87C: D3D8401D 180001A2
	v_mul_f32_e32 v29, v28, v29                                // 00000000F884: 0A3A3B1C
	v_accvgpr_write_b32 a162, v29                              // 00000000F888: D3D940A2 1800011D
	v_accvgpr_read_b32 v29, a163                               // 00000000F890: D3D8401D 180001A3
	v_mul_f32_e32 v29, v28, v29                                // 00000000F898: 0A3A3B1C
	v_accvgpr_write_b32 a163, v29                              // 00000000F89C: D3D940A3 1800011D
	v_accvgpr_read_b32 v29, a164                               // 00000000F8A4: D3D8401D 180001A4
	v_mul_f32_e32 v29, v28, v29                                // 00000000F8AC: 0A3A3B1C
	v_accvgpr_write_b32 a164, v29                              // 00000000F8B0: D3D940A4 1800011D
	v_accvgpr_read_b32 v29, a165                               // 00000000F8B8: D3D8401D 180001A5
	v_mul_f32_e32 v29, v28, v29                                // 00000000F8C0: 0A3A3B1C
	v_accvgpr_write_b32 a165, v29                              // 00000000F8C4: D3D940A5 1800011D
	v_accvgpr_read_b32 v29, a166                               // 00000000F8CC: D3D8401D 180001A6
	v_mul_f32_e32 v29, v28, v29                                // 00000000F8D4: 0A3A3B1C
	v_accvgpr_write_b32 a166, v29                              // 00000000F8D8: D3D940A6 1800011D
	v_accvgpr_read_b32 v29, a167                               // 00000000F8E0: D3D8401D 180001A7
	v_mul_f32_e32 v29, v28, v29                                // 00000000F8E8: 0A3A3B1C
	v_accvgpr_write_b32 a167, v29                              // 00000000F8EC: D3D940A7 1800011D
	v_accvgpr_read_b32 v29, a168                               // 00000000F8F4: D3D8401D 180001A8
	v_mul_f32_e32 v29, v28, v29                                // 00000000F8FC: 0A3A3B1C
	v_accvgpr_write_b32 a168, v29                              // 00000000F900: D3D940A8 1800011D
	v_accvgpr_read_b32 v29, a169                               // 00000000F908: D3D8401D 180001A9
	v_mul_f32_e32 v29, v28, v29                                // 00000000F910: 0A3A3B1C
	v_accvgpr_write_b32 a169, v29                              // 00000000F914: D3D940A9 1800011D
	v_accvgpr_read_b32 v29, a170                               // 00000000F91C: D3D8401D 180001AA
	v_mul_f32_e32 v29, v28, v29                                // 00000000F924: 0A3A3B1C
	v_accvgpr_write_b32 a170, v29                              // 00000000F928: D3D940AA 1800011D
	v_accvgpr_read_b32 v29, a171                               // 00000000F930: D3D8401D 180001AB
	v_mul_f32_e32 v29, v28, v29                                // 00000000F938: 0A3A3B1C
	v_accvgpr_write_b32 a171, v29                              // 00000000F93C: D3D940AB 1800011D
	v_accvgpr_read_b32 v29, a172                               // 00000000F944: D3D8401D 180001AC
	v_mul_f32_e32 v29, v28, v29                                // 00000000F94C: 0A3A3B1C
	v_accvgpr_write_b32 a172, v29                              // 00000000F950: D3D940AC 1800011D
	v_accvgpr_read_b32 v29, a173                               // 00000000F958: D3D8401D 180001AD
	v_mul_f32_e32 v29, v28, v29                                // 00000000F960: 0A3A3B1C
	v_accvgpr_write_b32 a173, v29                              // 00000000F964: D3D940AD 1800011D
	v_accvgpr_read_b32 v29, a174                               // 00000000F96C: D3D8401D 180001AE
	v_mul_f32_e32 v29, v28, v29                                // 00000000F974: 0A3A3B1C
	v_accvgpr_write_b32 a174, v29                              // 00000000F978: D3D940AE 1800011D
	v_accvgpr_read_b32 v29, a175                               // 00000000F980: D3D8401D 180001AF
	v_mul_f32_e32 v29, v28, v29                                // 00000000F988: 0A3A3B1C
	v_accvgpr_write_b32 a175, v29                              // 00000000F98C: D3D940AF 1800011D
	v_accvgpr_read_b32 v29, a176                               // 00000000F994: D3D8401D 180001B0
	v_mul_f32_e32 v29, v28, v29                                // 00000000F99C: 0A3A3B1C
	v_accvgpr_write_b32 a176, v29                              // 00000000F9A0: D3D940B0 1800011D
	v_accvgpr_read_b32 v29, a177                               // 00000000F9A8: D3D8401D 180001B1
	v_mul_f32_e32 v29, v28, v29                                // 00000000F9B0: 0A3A3B1C
	v_accvgpr_write_b32 a177, v29                              // 00000000F9B4: D3D940B1 1800011D
	v_accvgpr_read_b32 v29, a178                               // 00000000F9BC: D3D8401D 180001B2
	v_mul_f32_e32 v29, v28, v29                                // 00000000F9C4: 0A3A3B1C
	v_accvgpr_write_b32 a178, v29                              // 00000000F9C8: D3D940B2 1800011D
	v_accvgpr_read_b32 v29, a179                               // 00000000F9D0: D3D8401D 180001B3
	v_mul_f32_e32 v29, v28, v29                                // 00000000F9D8: 0A3A3B1C
	v_accvgpr_write_b32 a179, v29                              // 00000000F9DC: D3D940B3 1800011D
	v_accvgpr_read_b32 v29, a180                               // 00000000F9E4: D3D8401D 180001B4
	v_mul_f32_e32 v29, v28, v29                                // 00000000F9EC: 0A3A3B1C
	v_accvgpr_write_b32 a180, v29                              // 00000000F9F0: D3D940B4 1800011D
	v_accvgpr_read_b32 v29, a181                               // 00000000F9F8: D3D8401D 180001B5
	v_mul_f32_e32 v29, v28, v29                                // 00000000FA00: 0A3A3B1C
	v_accvgpr_write_b32 a181, v29                              // 00000000FA04: D3D940B5 1800011D
	v_accvgpr_read_b32 v29, a182                               // 00000000FA0C: D3D8401D 180001B6
	v_mul_f32_e32 v29, v28, v29                                // 00000000FA14: 0A3A3B1C
	v_accvgpr_write_b32 a182, v29                              // 00000000FA18: D3D940B6 1800011D
	v_accvgpr_read_b32 v29, a183                               // 00000000FA20: D3D8401D 180001B7
	v_mul_f32_e32 v29, v28, v29                                // 00000000FA28: 0A3A3B1C
	v_accvgpr_write_b32 a183, v29                              // 00000000FA2C: D3D940B7 1800011D
	v_accvgpr_read_b32 v29, a184                               // 00000000FA34: D3D8401D 180001B8
	v_mul_f32_e32 v29, v28, v29                                // 00000000FA3C: 0A3A3B1C
	v_accvgpr_write_b32 a184, v29                              // 00000000FA40: D3D940B8 1800011D
	v_accvgpr_read_b32 v29, a185                               // 00000000FA48: D3D8401D 180001B9
	v_mul_f32_e32 v29, v28, v29                                // 00000000FA50: 0A3A3B1C
	v_accvgpr_write_b32 a185, v29                              // 00000000FA54: D3D940B9 1800011D
	v_accvgpr_read_b32 v29, a186                               // 00000000FA5C: D3D8401D 180001BA
	v_mul_f32_e32 v29, v28, v29                                // 00000000FA64: 0A3A3B1C
	v_accvgpr_write_b32 a186, v29                              // 00000000FA68: D3D940BA 1800011D
	v_accvgpr_read_b32 v29, a187                               // 00000000FA70: D3D8401D 180001BB
	v_mul_f32_e32 v29, v28, v29                                // 00000000FA78: 0A3A3B1C
	v_accvgpr_write_b32 a187, v29                              // 00000000FA7C: D3D940BB 1800011D
	v_accvgpr_read_b32 v29, a188                               // 00000000FA84: D3D8401D 180001BC
	v_mul_f32_e32 v29, v28, v29                                // 00000000FA8C: 0A3A3B1C
	v_accvgpr_write_b32 a188, v29                              // 00000000FA90: D3D940BC 1800011D
	v_accvgpr_read_b32 v29, a189                               // 00000000FA98: D3D8401D 180001BD
	v_mul_f32_e32 v29, v28, v29                                // 00000000FAA0: 0A3A3B1C
	v_accvgpr_write_b32 a189, v29                              // 00000000FAA4: D3D940BD 1800011D
	v_accvgpr_read_b32 v29, a190                               // 00000000FAAC: D3D8401D 180001BE
	v_mul_f32_e32 v29, v28, v29                                // 00000000FAB4: 0A3A3B1C
	v_accvgpr_write_b32 a190, v29                              // 00000000FAB8: D3D940BE 1800011D
	v_accvgpr_read_b32 v29, a191                               // 00000000FAC0: D3D8401D 180001BF
	v_mul_f32_e32 v29, v28, v29                                // 00000000FAC8: 0A3A3B1C
	v_accvgpr_write_b32 a191, v29                              // 00000000FACC: D3D940BF 1800011D
	v_accvgpr_read_b32 v29, a192                               // 00000000FAD4: D3D8401D 180001C0
	v_mul_f32_e32 v29, v28, v29                                // 00000000FADC: 0A3A3B1C
	v_accvgpr_write_b32 a192, v29                              // 00000000FAE0: D3D940C0 1800011D
	v_accvgpr_read_b32 v29, a193                               // 00000000FAE8: D3D8401D 180001C1
	v_mul_f32_e32 v29, v28, v29                                // 00000000FAF0: 0A3A3B1C
	v_accvgpr_write_b32 a193, v29                              // 00000000FAF4: D3D940C1 1800011D
	v_accvgpr_read_b32 v29, a194                               // 00000000FAFC: D3D8401D 180001C2
	v_mul_f32_e32 v29, v28, v29                                // 00000000FB04: 0A3A3B1C
	v_accvgpr_write_b32 a194, v29                              // 00000000FB08: D3D940C2 1800011D
	v_accvgpr_read_b32 v29, a195                               // 00000000FB10: D3D8401D 180001C3
	v_mul_f32_e32 v29, v28, v29                                // 00000000FB18: 0A3A3B1C
	v_accvgpr_write_b32 a195, v29                              // 00000000FB1C: D3D940C3 1800011D
	v_accvgpr_read_b32 v29, a196                               // 00000000FB24: D3D8401D 180001C4
	v_mul_f32_e32 v29, v28, v29                                // 00000000FB2C: 0A3A3B1C
	v_accvgpr_write_b32 a196, v29                              // 00000000FB30: D3D940C4 1800011D
	v_accvgpr_read_b32 v29, a197                               // 00000000FB38: D3D8401D 180001C5
	v_mul_f32_e32 v29, v28, v29                                // 00000000FB40: 0A3A3B1C
	v_accvgpr_write_b32 a197, v29                              // 00000000FB44: D3D940C5 1800011D
	v_accvgpr_read_b32 v29, a198                               // 00000000FB4C: D3D8401D 180001C6
	v_mul_f32_e32 v29, v28, v29                                // 00000000FB54: 0A3A3B1C
	v_accvgpr_write_b32 a198, v29                              // 00000000FB58: D3D940C6 1800011D
	v_accvgpr_read_b32 v29, a199                               // 00000000FB60: D3D8401D 180001C7
	v_mul_f32_e32 v29, v28, v29                                // 00000000FB68: 0A3A3B1C
	v_accvgpr_write_b32 a199, v29                              // 00000000FB6C: D3D940C7 1800011D
	v_accvgpr_read_b32 v29, a200                               // 00000000FB74: D3D8401D 180001C8
	v_mul_f32_e32 v29, v28, v29                                // 00000000FB7C: 0A3A3B1C
	v_accvgpr_write_b32 a200, v29                              // 00000000FB80: D3D940C8 1800011D
	v_accvgpr_read_b32 v29, a201                               // 00000000FB88: D3D8401D 180001C9
	v_mul_f32_e32 v29, v28, v29                                // 00000000FB90: 0A3A3B1C
	v_accvgpr_write_b32 a201, v29                              // 00000000FB94: D3D940C9 1800011D
	v_accvgpr_read_b32 v29, a202                               // 00000000FB9C: D3D8401D 180001CA
	v_mul_f32_e32 v29, v28, v29                                // 00000000FBA4: 0A3A3B1C
	v_accvgpr_write_b32 a202, v29                              // 00000000FBA8: D3D940CA 1800011D
	v_accvgpr_read_b32 v29, a203                               // 00000000FBB0: D3D8401D 180001CB
	v_mul_f32_e32 v29, v28, v29                                // 00000000FBB8: 0A3A3B1C
	v_accvgpr_write_b32 a203, v29                              // 00000000FBBC: D3D940CB 1800011D
	v_accvgpr_read_b32 v29, a204                               // 00000000FBC4: D3D8401D 180001CC
	v_mul_f32_e32 v29, v28, v29                                // 00000000FBCC: 0A3A3B1C
	v_accvgpr_write_b32 a204, v29                              // 00000000FBD0: D3D940CC 1800011D
	v_accvgpr_read_b32 v29, a205                               // 00000000FBD8: D3D8401D 180001CD
	v_mul_f32_e32 v29, v28, v29                                // 00000000FBE0: 0A3A3B1C
	v_accvgpr_write_b32 a205, v29                              // 00000000FBE4: D3D940CD 1800011D
	v_accvgpr_read_b32 v29, a206                               // 00000000FBEC: D3D8401D 180001CE
	v_mul_f32_e32 v29, v28, v29                                // 00000000FBF4: 0A3A3B1C
	v_accvgpr_write_b32 a206, v29                              // 00000000FBF8: D3D940CE 1800011D
	v_accvgpr_read_b32 v29, a207                               // 00000000FC00: D3D8401D 180001CF
	v_mul_f32_e32 v29, v28, v29                                // 00000000FC08: 0A3A3B1C
	v_accvgpr_write_b32 a207, v29                              // 00000000FC0C: D3D940CF 1800011D
	v_accvgpr_read_b32 v29, a208                               // 00000000FC14: D3D8401D 180001D0
	v_mul_f32_e32 v29, v28, v29                                // 00000000FC1C: 0A3A3B1C
	v_accvgpr_write_b32 a208, v29                              // 00000000FC20: D3D940D0 1800011D
	v_accvgpr_read_b32 v29, a209                               // 00000000FC28: D3D8401D 180001D1
	v_mul_f32_e32 v29, v28, v29                                // 00000000FC30: 0A3A3B1C
	v_accvgpr_write_b32 a209, v29                              // 00000000FC34: D3D940D1 1800011D
	v_accvgpr_read_b32 v29, a210                               // 00000000FC3C: D3D8401D 180001D2
	v_mul_f32_e32 v29, v28, v29                                // 00000000FC44: 0A3A3B1C
	v_accvgpr_write_b32 a210, v29                              // 00000000FC48: D3D940D2 1800011D
	v_accvgpr_read_b32 v29, a211                               // 00000000FC50: D3D8401D 180001D3
	v_mul_f32_e32 v29, v28, v29                                // 00000000FC58: 0A3A3B1C
	v_accvgpr_write_b32 a211, v29                              // 00000000FC5C: D3D940D3 1800011D
	v_accvgpr_read_b32 v29, a212                               // 00000000FC64: D3D8401D 180001D4
	v_mul_f32_e32 v29, v28, v29                                // 00000000FC6C: 0A3A3B1C
	v_accvgpr_write_b32 a212, v29                              // 00000000FC70: D3D940D4 1800011D
	v_accvgpr_read_b32 v29, a213                               // 00000000FC78: D3D8401D 180001D5
	v_mul_f32_e32 v29, v28, v29                                // 00000000FC80: 0A3A3B1C
	v_accvgpr_write_b32 a213, v29                              // 00000000FC84: D3D940D5 1800011D
	v_accvgpr_read_b32 v29, a214                               // 00000000FC8C: D3D8401D 180001D6
	v_mul_f32_e32 v29, v28, v29                                // 00000000FC94: 0A3A3B1C
	v_accvgpr_write_b32 a214, v29                              // 00000000FC98: D3D940D6 1800011D
	v_accvgpr_read_b32 v29, a215                               // 00000000FCA0: D3D8401D 180001D7
	v_mul_f32_e32 v29, v28, v29                                // 00000000FCA8: 0A3A3B1C
	v_accvgpr_write_b32 a215, v29                              // 00000000FCAC: D3D940D7 1800011D
	v_accvgpr_read_b32 v29, a216                               // 00000000FCB4: D3D8401D 180001D8
	v_mul_f32_e32 v29, v28, v29                                // 00000000FCBC: 0A3A3B1C
	v_accvgpr_write_b32 a216, v29                              // 00000000FCC0: D3D940D8 1800011D
	v_accvgpr_read_b32 v29, a217                               // 00000000FCC8: D3D8401D 180001D9
	v_mul_f32_e32 v29, v28, v29                                // 00000000FCD0: 0A3A3B1C
	v_accvgpr_write_b32 a217, v29                              // 00000000FCD4: D3D940D9 1800011D
	v_accvgpr_read_b32 v29, a218                               // 00000000FCDC: D3D8401D 180001DA
	v_mul_f32_e32 v29, v28, v29                                // 00000000FCE4: 0A3A3B1C
	v_accvgpr_write_b32 a218, v29                              // 00000000FCE8: D3D940DA 1800011D
	v_accvgpr_read_b32 v29, a219                               // 00000000FCF0: D3D8401D 180001DB
	v_mul_f32_e32 v29, v28, v29                                // 00000000FCF8: 0A3A3B1C
	v_accvgpr_write_b32 a219, v29                              // 00000000FCFC: D3D940DB 1800011D
	v_accvgpr_read_b32 v29, a220                               // 00000000FD04: D3D8401D 180001DC
	v_mul_f32_e32 v29, v28, v29                                // 00000000FD0C: 0A3A3B1C
	v_accvgpr_write_b32 a220, v29                              // 00000000FD10: D3D940DC 1800011D
	v_accvgpr_read_b32 v29, a221                               // 00000000FD18: D3D8401D 180001DD
	v_mul_f32_e32 v29, v28, v29                                // 00000000FD20: 0A3A3B1C
	v_accvgpr_write_b32 a221, v29                              // 00000000FD24: D3D940DD 1800011D
	v_accvgpr_read_b32 v29, a222                               // 00000000FD2C: D3D8401D 180001DE
	v_mul_f32_e32 v29, v28, v29                                // 00000000FD34: 0A3A3B1C
	v_accvgpr_write_b32 a222, v29                              // 00000000FD38: D3D940DE 1800011D
	v_accvgpr_read_b32 v29, a223                               // 00000000FD40: D3D8401D 180001DF
	v_mul_f32_e32 v29, v28, v29                                // 00000000FD48: 0A3A3B1C
	v_accvgpr_write_b32 a223, v29                              // 00000000FD4C: D3D940DF 1800011D
	v_accvgpr_read_b32 v29, a224                               // 00000000FD54: D3D8401D 180001E0
	v_mul_f32_e32 v29, v28, v29                                // 00000000FD5C: 0A3A3B1C
	v_accvgpr_write_b32 a224, v29                              // 00000000FD60: D3D940E0 1800011D
	v_accvgpr_read_b32 v29, a225                               // 00000000FD68: D3D8401D 180001E1
	v_mul_f32_e32 v29, v28, v29                                // 00000000FD70: 0A3A3B1C
	v_accvgpr_write_b32 a225, v29                              // 00000000FD74: D3D940E1 1800011D
	v_accvgpr_read_b32 v29, a226                               // 00000000FD7C: D3D8401D 180001E2
	v_mul_f32_e32 v29, v28, v29                                // 00000000FD84: 0A3A3B1C
	v_accvgpr_write_b32 a226, v29                              // 00000000FD88: D3D940E2 1800011D
	v_accvgpr_read_b32 v29, a227                               // 00000000FD90: D3D8401D 180001E3
	v_mul_f32_e32 v29, v28, v29                                // 00000000FD98: 0A3A3B1C
	v_accvgpr_write_b32 a227, v29                              // 00000000FD9C: D3D940E3 1800011D
	v_accvgpr_read_b32 v29, a228                               // 00000000FDA4: D3D8401D 180001E4
	v_mul_f32_e32 v29, v28, v29                                // 00000000FDAC: 0A3A3B1C
	v_accvgpr_write_b32 a228, v29                              // 00000000FDB0: D3D940E4 1800011D
	v_accvgpr_read_b32 v29, a229                               // 00000000FDB8: D3D8401D 180001E5
	v_mul_f32_e32 v29, v28, v29                                // 00000000FDC0: 0A3A3B1C
	v_accvgpr_write_b32 a229, v29                              // 00000000FDC4: D3D940E5 1800011D
	v_accvgpr_read_b32 v29, a230                               // 00000000FDCC: D3D8401D 180001E6
	v_mul_f32_e32 v29, v28, v29                                // 00000000FDD4: 0A3A3B1C
	v_accvgpr_write_b32 a230, v29                              // 00000000FDD8: D3D940E6 1800011D
	v_accvgpr_read_b32 v29, a231                               // 00000000FDE0: D3D8401D 180001E7
	v_mul_f32_e32 v29, v28, v29                                // 00000000FDE8: 0A3A3B1C
	v_accvgpr_write_b32 a231, v29                              // 00000000FDEC: D3D940E7 1800011D
	v_accvgpr_read_b32 v29, a232                               // 00000000FDF4: D3D8401D 180001E8
	v_mul_f32_e32 v29, v28, v29                                // 00000000FDFC: 0A3A3B1C
	v_accvgpr_write_b32 a232, v29                              // 00000000FE00: D3D940E8 1800011D
	v_accvgpr_read_b32 v29, a233                               // 00000000FE08: D3D8401D 180001E9
	v_mul_f32_e32 v29, v28, v29                                // 00000000FE10: 0A3A3B1C
	v_accvgpr_write_b32 a233, v29                              // 00000000FE14: D3D940E9 1800011D
	v_accvgpr_read_b32 v29, a234                               // 00000000FE1C: D3D8401D 180001EA
	v_mul_f32_e32 v29, v28, v29                                // 00000000FE24: 0A3A3B1C
	v_accvgpr_write_b32 a234, v29                              // 00000000FE28: D3D940EA 1800011D
	v_accvgpr_read_b32 v29, a235                               // 00000000FE30: D3D8401D 180001EB
	v_mul_f32_e32 v29, v28, v29                                // 00000000FE38: 0A3A3B1C
	v_accvgpr_write_b32 a235, v29                              // 00000000FE3C: D3D940EB 1800011D
	v_accvgpr_read_b32 v29, a236                               // 00000000FE44: D3D8401D 180001EC
	v_mul_f32_e32 v29, v28, v29                                // 00000000FE4C: 0A3A3B1C
	v_accvgpr_write_b32 a236, v29                              // 00000000FE50: D3D940EC 1800011D
	v_accvgpr_read_b32 v29, a237                               // 00000000FE58: D3D8401D 180001ED
	v_mul_f32_e32 v29, v28, v29                                // 00000000FE60: 0A3A3B1C
	v_accvgpr_write_b32 a237, v29                              // 00000000FE64: D3D940ED 1800011D
	v_accvgpr_read_b32 v29, a238                               // 00000000FE6C: D3D8401D 180001EE
	v_mul_f32_e32 v29, v28, v29                                // 00000000FE74: 0A3A3B1C
	v_accvgpr_write_b32 a238, v29                              // 00000000FE78: D3D940EE 1800011D
	v_accvgpr_read_b32 v29, a239                               // 00000000FE80: D3D8401D 180001EF
	v_mul_f32_e32 v29, v28, v29                                // 00000000FE88: 0A3A3B1C
	v_accvgpr_write_b32 a239, v29                              // 00000000FE8C: D3D940EF 1800011D
	v_mfma_f32_32x32x64_f8f6f4 v[64:79], a[72:79], v[32:39], v[64:79]// 00000000FE94: D3AE0040 0D024148
	v_mfma_f32_32x32x64_f8f6f4 v[80:95], a[80:87], v[32:39], v[80:95]// 00000000FE9C: D3AE0050 0D424150
	v_mfma_f32_32x32x64_f8f6f4 v[96:111], a[88:95], v[32:39], v[96:111]// 00000000FEA4: D3AE0060 0D824158
	v_mfma_f32_32x32x64_f8f6f4 v[112:127], a[96:103], v[32:39], v[112:127]// 00000000FEAC: D3AE0070 0DC24160
	v_mfma_f32_32x32x64_f8f6f4 v[128:143], a[104:111], v[32:39], v[128:143]// 00000000FEB4: D3AE0080 0E024168
	v_mfma_f32_32x32x64_f8f6f4 v[144:159], a[112:119], v[32:39], v[144:159]// 00000000FEBC: D3AE0090 0E424170
	v_mfma_f32_32x32x64_f8f6f4 v[160:175], a[120:127], v[32:39], v[160:175]// 00000000FEC4: D3AE00A0 0E824178
	v_mfma_f32_32x32x64_f8f6f4 v[176:191], a[128:135], v[32:39], v[176:191]// 00000000FECC: D3AE00B0 0EC24180
	ds_read_b64_tr_b8 a[72:73], v13 offset:4096                // 00000000FED4: DBC41000 4800000D
	ds_read_b64_tr_b8 a[74:75], v14 offset:4096                // 00000000FEDC: DBC41000 4A00000E
	ds_read_b64_tr_b8 a[76:77], v13 offset:22528               // 00000000FEE4: DBC45800 4C00000D
	ds_read_b64_tr_b8 a[78:79], v14 offset:22528               // 00000000FEEC: DBC45800 4E00000E
	ds_read_b64_tr_b8 a[80:81], v15 offset:4096                // 00000000FEF4: DBC41000 5000000F
	ds_read_b64_tr_b8 a[82:83], v16 offset:4096                // 00000000FEFC: DBC41000 52000010
	ds_read_b64_tr_b8 a[84:85], v15 offset:22528               // 00000000FF04: DBC45800 5400000F
	ds_read_b64_tr_b8 a[86:87], v16 offset:22528               // 00000000FF0C: DBC45800 56000010
	ds_read_b64_tr_b8 a[88:89], v13 offset:5120                // 00000000FF14: DBC41400 5800000D
	ds_read_b64_tr_b8 a[90:91], v14 offset:5120                // 00000000FF1C: DBC41400 5A00000E
	ds_read_b64_tr_b8 a[92:93], v13 offset:23552               // 00000000FF24: DBC45C00 5C00000D
	ds_read_b64_tr_b8 a[94:95], v14 offset:23552               // 00000000FF2C: DBC45C00 5E00000E
	ds_read_b64_tr_b8 a[96:97], v15 offset:5120                // 00000000FF34: DBC41400 6000000F
	ds_read_b64_tr_b8 a[98:99], v16 offset:5120                // 00000000FF3C: DBC41400 62000010
	ds_read_b64_tr_b8 a[100:101], v15 offset:23552             // 00000000FF44: DBC45C00 6400000F
	ds_read_b64_tr_b8 a[102:103], v16 offset:23552             // 00000000FF4C: DBC45C00 66000010
	ds_read_b64_tr_b8 a[104:105], v13 offset:6144              // 00000000FF54: DBC41800 6800000D
	ds_read_b64_tr_b8 a[106:107], v14 offset:6144              // 00000000FF5C: DBC41800 6A00000E
	ds_read_b64_tr_b8 a[108:109], v13 offset:24576             // 00000000FF64: DBC46000 6C00000D
	ds_read_b64_tr_b8 a[110:111], v14 offset:24576             // 00000000FF6C: DBC46000 6E00000E
	ds_read_b64_tr_b8 a[112:113], v15 offset:6144              // 00000000FF74: DBC41800 7000000F
	ds_read_b64_tr_b8 a[114:115], v16 offset:6144              // 00000000FF7C: DBC41800 72000010
	ds_read_b64_tr_b8 a[116:117], v15 offset:24576             // 00000000FF84: DBC46000 7400000F
	ds_read_b64_tr_b8 a[118:119], v16 offset:24576             // 00000000FF8C: DBC46000 76000010
	ds_read_b64_tr_b8 a[120:121], v13 offset:7168              // 00000000FF94: DBC41C00 7800000D
	ds_read_b64_tr_b8 a[122:123], v14 offset:7168              // 00000000FF9C: DBC41C00 7A00000E
	ds_read_b64_tr_b8 a[124:125], v13 offset:25600             // 00000000FFA4: DBC46400 7C00000D
	ds_read_b64_tr_b8 a[126:127], v14 offset:25600             // 00000000FFAC: DBC46400 7E00000E
	ds_read_b64_tr_b8 a[128:129], v15 offset:7168              // 00000000FFB4: DBC41C00 8000000F
	ds_read_b64_tr_b8 a[130:131], v16 offset:7168              // 00000000FFBC: DBC41C00 82000010
	ds_read_b64_tr_b8 a[132:133], v15 offset:25600             // 00000000FFC4: DBC46400 8400000F
	ds_read_b64_tr_b8 a[134:135], v16 offset:25600             // 00000000FFCC: DBC46400 86000010
	s_waitcnt lgkmcnt(0)                                       // 00000000FFD4: BF8CC07F
	v_mfma_f32_32x32x64_f8f6f4 v[192:207], a[72:79], v[32:39], v[192:207]// 00000000FFD8: D3AE00C0 0F024148
	v_mfma_f32_32x32x64_f8f6f4 v[208:223], a[80:87], v[32:39], v[208:223]// 00000000FFE0: D3AE00D0 0F424150
	v_mfma_f32_32x32x64_f8f6f4 a[144:159], a[88:95], v[32:39], a[144:159]// 00000000FFE8: D3AE8090 0E424158
	v_mfma_f32_32x32x64_f8f6f4 a[160:175], a[96:103], v[32:39], a[160:175]// 00000000FFF0: D3AE80A0 0E824160
	v_mfma_f32_32x32x64_f8f6f4 a[176:191], a[104:111], v[32:39], a[176:191]// 00000000FFF8: D3AE80B0 0EC24168
	v_mfma_f32_32x32x64_f8f6f4 a[192:207], a[112:119], v[32:39], a[192:207]// 000000010000: D3AE80C0 0F024170
	v_mfma_f32_32x32x64_f8f6f4 a[208:223], a[120:127], v[32:39], a[208:223]// 000000010008: D3AE80D0 0F424178
	v_mfma_f32_32x32x64_f8f6f4 a[224:239], a[128:135], v[32:39], a[224:239]// 000000010010: D3AE80E0 0F824180
	s_nop 8                                                    // 000000010018: BF800008
	s_branch label_DE28                                        // 00000001001C: BF820000

0000000000010020 <label_DE28>:
	v_mov_b32_e32 v28, v4                                      // 000000010020: 7E380304
	v_mov_b32_e32 v29, v4                                      // 000000010024: 7E3A0304
	s_nop 1                                                    // 000000010028: BF800001
	v_permlane32_swap_b32_e32 v28, v29                         // 00000001002C: 7E38B51D
	v_mov_b32_e32 v4, 0                                        // 000000010030: 7E080280
	v_add_f32_e32 v4, v28, v4                                  // 000000010034: 0208091C
	v_add_f32_e32 v4, v29, v4                                  // 000000010038: 0208091D
	v_mov_b32_e32 v28, 0                                       // 00000001003C: 7E380280
	v_cmp_eq_u32_e64 s[36:37], v28, v4                         // 000000010040: D0CA0024 0002091C
	v_mul_f32_e64 v28, v2, s64                                 // 000000010048: D105001C 00008102
	v_log_f32_e32 v29, v4                                      // 000000010050: 7E3A4304
	s_nop 1                                                    // 000000010054: BF800001
	v_rcp_f32_e32 v4, v4                                       // 000000010058: 7E084504
	s_nop 1                                                    // 00000001005C: BF800001
	v_fma_f32 v5, v29, s63, v28                                // 000000010060: D1CB0005 04707F1D
	v_mul_f32_e32 v4, s61, v4                                  // 000000010068: 0A08083D
	v_mov_b32_e32 v32, v4                                      // 00000001006C: 7E400304
	v_mov_b32_e32 v33, v4                                      // 000000010070: 7E420304
	v_pk_mul_f32 v[64:65], v[32:33], v[64:65]                  // 000000010074: D3B14040 18028120
	v_pk_mul_f32 v[66:67], v[32:33], v[66:67]                  // 00000001007C: D3B14042 18028520
	v_pk_mul_f32 v[68:69], v[32:33], v[68:69]                  // 000000010084: D3B14044 18028920
	v_pk_mul_f32 v[70:71], v[32:33], v[70:71]                  // 00000001008C: D3B14046 18028D20
	v_pk_mul_f32 v[72:73], v[32:33], v[72:73]                  // 000000010094: D3B14048 18029120
	v_pk_mul_f32 v[74:75], v[32:33], v[74:75]                  // 00000001009C: D3B1404A 18029520
	v_pk_mul_f32 v[76:77], v[32:33], v[76:77]                  // 0000000100A4: D3B1404C 18029920
	v_pk_mul_f32 v[78:79], v[32:33], v[78:79]                  // 0000000100AC: D3B1404E 18029D20
	v_pk_mul_f32 v[80:81], v[32:33], v[80:81]                  // 0000000100B4: D3B14050 1802A120
	v_pk_mul_f32 v[82:83], v[32:33], v[82:83]                  // 0000000100BC: D3B14052 1802A520
	v_pk_mul_f32 v[84:85], v[32:33], v[84:85]                  // 0000000100C4: D3B14054 1802A920
	v_pk_mul_f32 v[86:87], v[32:33], v[86:87]                  // 0000000100CC: D3B14056 1802AD20
	v_pk_mul_f32 v[88:89], v[32:33], v[88:89]                  // 0000000100D4: D3B14058 1802B120
	v_pk_mul_f32 v[90:91], v[32:33], v[90:91]                  // 0000000100DC: D3B1405A 1802B520
	v_pk_mul_f32 v[92:93], v[32:33], v[92:93]                  // 0000000100E4: D3B1405C 1802B920
	v_pk_mul_f32 v[94:95], v[32:33], v[94:95]                  // 0000000100EC: D3B1405E 1802BD20
	v_pk_mul_f32 v[96:97], v[32:33], v[96:97]                  // 0000000100F4: D3B14060 1802C120
	v_pk_mul_f32 v[98:99], v[32:33], v[98:99]                  // 0000000100FC: D3B14062 1802C520
	v_pk_mul_f32 v[100:101], v[32:33], v[100:101]              // 000000010104: D3B14064 1802C920
	v_pk_mul_f32 v[102:103], v[32:33], v[102:103]              // 00000001010C: D3B14066 1802CD20
	v_pk_mul_f32 v[104:105], v[32:33], v[104:105]              // 000000010114: D3B14068 1802D120
	v_pk_mul_f32 v[106:107], v[32:33], v[106:107]              // 00000001011C: D3B1406A 1802D520
	v_pk_mul_f32 v[108:109], v[32:33], v[108:109]              // 000000010124: D3B1406C 1802D920
	v_pk_mul_f32 v[110:111], v[32:33], v[110:111]              // 00000001012C: D3B1406E 1802DD20
	v_pk_mul_f32 v[112:113], v[32:33], v[112:113]              // 000000010134: D3B14070 1802E120
	v_pk_mul_f32 v[114:115], v[32:33], v[114:115]              // 00000001013C: D3B14072 1802E520
	v_pk_mul_f32 v[116:117], v[32:33], v[116:117]              // 000000010144: D3B14074 1802E920
	v_pk_mul_f32 v[118:119], v[32:33], v[118:119]              // 00000001014C: D3B14076 1802ED20
	v_pk_mul_f32 v[120:121], v[32:33], v[120:121]              // 000000010154: D3B14078 1802F120
	v_pk_mul_f32 v[122:123], v[32:33], v[122:123]              // 00000001015C: D3B1407A 1802F520
	v_pk_mul_f32 v[124:125], v[32:33], v[124:125]              // 000000010164: D3B1407C 1802F920
	v_pk_mul_f32 v[126:127], v[32:33], v[126:127]              // 00000001016C: D3B1407E 1802FD20
	v_pk_mul_f32 v[128:129], v[32:33], v[128:129]              // 000000010174: D3B14080 18030120
	v_pk_mul_f32 v[130:131], v[32:33], v[130:131]              // 00000001017C: D3B14082 18030520
	v_pk_mul_f32 v[132:133], v[32:33], v[132:133]              // 000000010184: D3B14084 18030920
	v_pk_mul_f32 v[134:135], v[32:33], v[134:135]              // 00000001018C: D3B14086 18030D20
	v_pk_mul_f32 v[136:137], v[32:33], v[136:137]              // 000000010194: D3B14088 18031120
	v_pk_mul_f32 v[138:139], v[32:33], v[138:139]              // 00000001019C: D3B1408A 18031520
	v_pk_mul_f32 v[140:141], v[32:33], v[140:141]              // 0000000101A4: D3B1408C 18031920
	v_pk_mul_f32 v[142:143], v[32:33], v[142:143]              // 0000000101AC: D3B1408E 18031D20
	v_pk_mul_f32 v[144:145], v[32:33], v[144:145]              // 0000000101B4: D3B14090 18032120
	v_pk_mul_f32 v[146:147], v[32:33], v[146:147]              // 0000000101BC: D3B14092 18032520
	v_pk_mul_f32 v[148:149], v[32:33], v[148:149]              // 0000000101C4: D3B14094 18032920
	v_pk_mul_f32 v[150:151], v[32:33], v[150:151]              // 0000000101CC: D3B14096 18032D20
	v_pk_mul_f32 v[152:153], v[32:33], v[152:153]              // 0000000101D4: D3B14098 18033120
	v_pk_mul_f32 v[154:155], v[32:33], v[154:155]              // 0000000101DC: D3B1409A 18033520
	v_pk_mul_f32 v[156:157], v[32:33], v[156:157]              // 0000000101E4: D3B1409C 18033920
	v_pk_mul_f32 v[158:159], v[32:33], v[158:159]              // 0000000101EC: D3B1409E 18033D20
	v_pk_mul_f32 v[160:161], v[32:33], v[160:161]              // 0000000101F4: D3B140A0 18034120
	v_pk_mul_f32 v[162:163], v[32:33], v[162:163]              // 0000000101FC: D3B140A2 18034520
	v_pk_mul_f32 v[164:165], v[32:33], v[164:165]              // 000000010204: D3B140A4 18034920
	v_pk_mul_f32 v[166:167], v[32:33], v[166:167]              // 00000001020C: D3B140A6 18034D20
	v_pk_mul_f32 v[168:169], v[32:33], v[168:169]              // 000000010214: D3B140A8 18035120
	v_pk_mul_f32 v[170:171], v[32:33], v[170:171]              // 00000001021C: D3B140AA 18035520
	v_pk_mul_f32 v[172:173], v[32:33], v[172:173]              // 000000010224: D3B140AC 18035920
	v_pk_mul_f32 v[174:175], v[32:33], v[174:175]              // 00000001022C: D3B140AE 18035D20
	v_pk_mul_f32 v[176:177], v[32:33], v[176:177]              // 000000010234: D3B140B0 18036120
	v_pk_mul_f32 v[178:179], v[32:33], v[178:179]              // 00000001023C: D3B140B2 18036520
	v_pk_mul_f32 v[180:181], v[32:33], v[180:181]              // 000000010244: D3B140B4 18036920
	v_pk_mul_f32 v[182:183], v[32:33], v[182:183]              // 00000001024C: D3B140B6 18036D20
	v_pk_mul_f32 v[184:185], v[32:33], v[184:185]              // 000000010254: D3B140B8 18037120
	v_pk_mul_f32 v[186:187], v[32:33], v[186:187]              // 00000001025C: D3B140BA 18037520
	v_pk_mul_f32 v[188:189], v[32:33], v[188:189]              // 000000010264: D3B140BC 18037920
	v_pk_mul_f32 v[190:191], v[32:33], v[190:191]              // 00000001026C: D3B140BE 18037D20
	v_pk_mul_f32 v[192:193], v[32:33], v[192:193]              // 000000010274: D3B140C0 18038120
	v_pk_mul_f32 v[194:195], v[32:33], v[194:195]              // 00000001027C: D3B140C2 18038520
	v_pk_mul_f32 v[196:197], v[32:33], v[196:197]              // 000000010284: D3B140C4 18038920
	v_pk_mul_f32 v[198:199], v[32:33], v[198:199]              // 00000001028C: D3B140C6 18038D20
	v_pk_mul_f32 v[200:201], v[32:33], v[200:201]              // 000000010294: D3B140C8 18039120
	v_pk_mul_f32 v[202:203], v[32:33], v[202:203]              // 00000001029C: D3B140CA 18039520
	v_pk_mul_f32 v[204:205], v[32:33], v[204:205]              // 0000000102A4: D3B140CC 18039920
	v_pk_mul_f32 v[206:207], v[32:33], v[206:207]              // 0000000102AC: D3B140CE 18039D20
	v_pk_mul_f32 v[208:209], v[32:33], v[208:209]              // 0000000102B4: D3B140D0 1803A120
	v_pk_mul_f32 v[210:211], v[32:33], v[210:211]              // 0000000102BC: D3B140D2 1803A520
	v_pk_mul_f32 v[212:213], v[32:33], v[212:213]              // 0000000102C4: D3B140D4 1803A920
	v_pk_mul_f32 v[214:215], v[32:33], v[214:215]              // 0000000102CC: D3B140D6 1803AD20
	v_pk_mul_f32 v[216:217], v[32:33], v[216:217]              // 0000000102D4: D3B140D8 1803B120
	v_pk_mul_f32 v[218:219], v[32:33], v[218:219]              // 0000000102DC: D3B140DA 1803B520
	v_pk_mul_f32 v[220:221], v[32:33], v[220:221]              // 0000000102E4: D3B140DC 1803B920
	v_pk_mul_f32 v[222:223], v[32:33], v[222:223]              // 0000000102EC: D3B140DE 1803BD20
	v_accvgpr_read_b32 v34, a144                               // 0000000102F4: D3D84022 18000190
	v_accvgpr_read_b32 v35, a145                               // 0000000102FC: D3D84023 18000191
	v_pk_mul_f32 v[34:35], v[32:33], v[34:35]                  // 000000010304: D3B14022 18024520
	v_accvgpr_write_b32 a144, v34                              // 00000001030C: D3D94090 18000122
	v_accvgpr_write_b32 a145, v35                              // 000000010314: D3D94091 18000123
	v_accvgpr_read_b32 v34, a146                               // 00000001031C: D3D84022 18000192
	v_accvgpr_read_b32 v35, a147                               // 000000010324: D3D84023 18000193
	v_pk_mul_f32 v[34:35], v[32:33], v[34:35]                  // 00000001032C: D3B14022 18024520
	v_accvgpr_write_b32 a146, v34                              // 000000010334: D3D94092 18000122
	v_accvgpr_write_b32 a147, v35                              // 00000001033C: D3D94093 18000123
	v_accvgpr_read_b32 v34, a148                               // 000000010344: D3D84022 18000194
	v_accvgpr_read_b32 v35, a149                               // 00000001034C: D3D84023 18000195
	v_pk_mul_f32 v[34:35], v[32:33], v[34:35]                  // 000000010354: D3B14022 18024520
	v_accvgpr_write_b32 a148, v34                              // 00000001035C: D3D94094 18000122
	v_accvgpr_write_b32 a149, v35                              // 000000010364: D3D94095 18000123
	v_accvgpr_read_b32 v34, a150                               // 00000001036C: D3D84022 18000196
	v_accvgpr_read_b32 v35, a151                               // 000000010374: D3D84023 18000197
	v_pk_mul_f32 v[34:35], v[32:33], v[34:35]                  // 00000001037C: D3B14022 18024520
	v_accvgpr_write_b32 a150, v34                              // 000000010384: D3D94096 18000122
	v_accvgpr_write_b32 a151, v35                              // 00000001038C: D3D94097 18000123
	v_accvgpr_read_b32 v34, a152                               // 000000010394: D3D84022 18000198
	v_accvgpr_read_b32 v35, a153                               // 00000001039C: D3D84023 18000199
	v_pk_mul_f32 v[34:35], v[32:33], v[34:35]                  // 0000000103A4: D3B14022 18024520
	v_accvgpr_write_b32 a152, v34                              // 0000000103AC: D3D94098 18000122
	v_accvgpr_write_b32 a153, v35                              // 0000000103B4: D3D94099 18000123
	v_accvgpr_read_b32 v34, a154                               // 0000000103BC: D3D84022 1800019A
	v_accvgpr_read_b32 v35, a155                               // 0000000103C4: D3D84023 1800019B
	v_pk_mul_f32 v[34:35], v[32:33], v[34:35]                  // 0000000103CC: D3B14022 18024520
	v_accvgpr_write_b32 a154, v34                              // 0000000103D4: D3D9409A 18000122
	v_accvgpr_write_b32 a155, v35                              // 0000000103DC: D3D9409B 18000123
	v_accvgpr_read_b32 v34, a156                               // 0000000103E4: D3D84022 1800019C
	v_accvgpr_read_b32 v35, a157                               // 0000000103EC: D3D84023 1800019D
	v_pk_mul_f32 v[34:35], v[32:33], v[34:35]                  // 0000000103F4: D3B14022 18024520
	v_accvgpr_write_b32 a156, v34                              // 0000000103FC: D3D9409C 18000122
	v_accvgpr_write_b32 a157, v35                              // 000000010404: D3D9409D 18000123
	v_accvgpr_read_b32 v34, a158                               // 00000001040C: D3D84022 1800019E
	v_accvgpr_read_b32 v35, a159                               // 000000010414: D3D84023 1800019F
	v_pk_mul_f32 v[34:35], v[32:33], v[34:35]                  // 00000001041C: D3B14022 18024520
	v_accvgpr_write_b32 a158, v34                              // 000000010424: D3D9409E 18000122
	v_accvgpr_write_b32 a159, v35                              // 00000001042C: D3D9409F 18000123
	v_accvgpr_read_b32 v34, a160                               // 000000010434: D3D84022 180001A0
	v_accvgpr_read_b32 v35, a161                               // 00000001043C: D3D84023 180001A1
	v_pk_mul_f32 v[34:35], v[32:33], v[34:35]                  // 000000010444: D3B14022 18024520
	v_accvgpr_write_b32 a160, v34                              // 00000001044C: D3D940A0 18000122
	v_accvgpr_write_b32 a161, v35                              // 000000010454: D3D940A1 18000123
	v_accvgpr_read_b32 v34, a162                               // 00000001045C: D3D84022 180001A2
	v_accvgpr_read_b32 v35, a163                               // 000000010464: D3D84023 180001A3
	v_pk_mul_f32 v[34:35], v[32:33], v[34:35]                  // 00000001046C: D3B14022 18024520
	v_accvgpr_write_b32 a162, v34                              // 000000010474: D3D940A2 18000122
	v_accvgpr_write_b32 a163, v35                              // 00000001047C: D3D940A3 18000123
	v_accvgpr_read_b32 v34, a164                               // 000000010484: D3D84022 180001A4
	v_accvgpr_read_b32 v35, a165                               // 00000001048C: D3D84023 180001A5
	v_pk_mul_f32 v[34:35], v[32:33], v[34:35]                  // 000000010494: D3B14022 18024520
	v_accvgpr_write_b32 a164, v34                              // 00000001049C: D3D940A4 18000122
	v_accvgpr_write_b32 a165, v35                              // 0000000104A4: D3D940A5 18000123
	v_accvgpr_read_b32 v34, a166                               // 0000000104AC: D3D84022 180001A6
	v_accvgpr_read_b32 v35, a167                               // 0000000104B4: D3D84023 180001A7
	v_pk_mul_f32 v[34:35], v[32:33], v[34:35]                  // 0000000104BC: D3B14022 18024520
	v_accvgpr_write_b32 a166, v34                              // 0000000104C4: D3D940A6 18000122
	v_accvgpr_write_b32 a167, v35                              // 0000000104CC: D3D940A7 18000123
	v_accvgpr_read_b32 v34, a168                               // 0000000104D4: D3D84022 180001A8
	v_accvgpr_read_b32 v35, a169                               // 0000000104DC: D3D84023 180001A9
	v_pk_mul_f32 v[34:35], v[32:33], v[34:35]                  // 0000000104E4: D3B14022 18024520
	v_accvgpr_write_b32 a168, v34                              // 0000000104EC: D3D940A8 18000122
	v_accvgpr_write_b32 a169, v35                              // 0000000104F4: D3D940A9 18000123
	v_accvgpr_read_b32 v34, a170                               // 0000000104FC: D3D84022 180001AA
	v_accvgpr_read_b32 v35, a171                               // 000000010504: D3D84023 180001AB
	v_pk_mul_f32 v[34:35], v[32:33], v[34:35]                  // 00000001050C: D3B14022 18024520
	v_accvgpr_write_b32 a170, v34                              // 000000010514: D3D940AA 18000122
	v_accvgpr_write_b32 a171, v35                              // 00000001051C: D3D940AB 18000123
	v_accvgpr_read_b32 v34, a172                               // 000000010524: D3D84022 180001AC
	v_accvgpr_read_b32 v35, a173                               // 00000001052C: D3D84023 180001AD
	v_pk_mul_f32 v[34:35], v[32:33], v[34:35]                  // 000000010534: D3B14022 18024520
	v_accvgpr_write_b32 a172, v34                              // 00000001053C: D3D940AC 18000122
	v_accvgpr_write_b32 a173, v35                              // 000000010544: D3D940AD 18000123
	v_accvgpr_read_b32 v34, a174                               // 00000001054C: D3D84022 180001AE
	v_accvgpr_read_b32 v35, a175                               // 000000010554: D3D84023 180001AF
	v_pk_mul_f32 v[34:35], v[32:33], v[34:35]                  // 00000001055C: D3B14022 18024520
	v_accvgpr_write_b32 a174, v34                              // 000000010564: D3D940AE 18000122
	v_accvgpr_write_b32 a175, v35                              // 00000001056C: D3D940AF 18000123
	v_accvgpr_read_b32 v34, a176                               // 000000010574: D3D84022 180001B0
	v_accvgpr_read_b32 v35, a177                               // 00000001057C: D3D84023 180001B1
	v_pk_mul_f32 v[34:35], v[32:33], v[34:35]                  // 000000010584: D3B14022 18024520
	v_accvgpr_write_b32 a176, v34                              // 00000001058C: D3D940B0 18000122
	v_accvgpr_write_b32 a177, v35                              // 000000010594: D3D940B1 18000123
	v_accvgpr_read_b32 v34, a178                               // 00000001059C: D3D84022 180001B2
	v_accvgpr_read_b32 v35, a179                               // 0000000105A4: D3D84023 180001B3
	v_pk_mul_f32 v[34:35], v[32:33], v[34:35]                  // 0000000105AC: D3B14022 18024520
	v_accvgpr_write_b32 a178, v34                              // 0000000105B4: D3D940B2 18000122
	v_accvgpr_write_b32 a179, v35                              // 0000000105BC: D3D940B3 18000123
	v_accvgpr_read_b32 v34, a180                               // 0000000105C4: D3D84022 180001B4
	v_accvgpr_read_b32 v35, a181                               // 0000000105CC: D3D84023 180001B5
	v_pk_mul_f32 v[34:35], v[32:33], v[34:35]                  // 0000000105D4: D3B14022 18024520
	v_accvgpr_write_b32 a180, v34                              // 0000000105DC: D3D940B4 18000122
	v_accvgpr_write_b32 a181, v35                              // 0000000105E4: D3D940B5 18000123
	v_accvgpr_read_b32 v34, a182                               // 0000000105EC: D3D84022 180001B6
	v_accvgpr_read_b32 v35, a183                               // 0000000105F4: D3D84023 180001B7
	v_pk_mul_f32 v[34:35], v[32:33], v[34:35]                  // 0000000105FC: D3B14022 18024520
	v_accvgpr_write_b32 a182, v34                              // 000000010604: D3D940B6 18000122
	v_accvgpr_write_b32 a183, v35                              // 00000001060C: D3D940B7 18000123
	v_accvgpr_read_b32 v34, a184                               // 000000010614: D3D84022 180001B8
	v_accvgpr_read_b32 v35, a185                               // 00000001061C: D3D84023 180001B9
	v_pk_mul_f32 v[34:35], v[32:33], v[34:35]                  // 000000010624: D3B14022 18024520
	v_accvgpr_write_b32 a184, v34                              // 00000001062C: D3D940B8 18000122
	v_accvgpr_write_b32 a185, v35                              // 000000010634: D3D940B9 18000123
	v_accvgpr_read_b32 v34, a186                               // 00000001063C: D3D84022 180001BA
	v_accvgpr_read_b32 v35, a187                               // 000000010644: D3D84023 180001BB
	v_pk_mul_f32 v[34:35], v[32:33], v[34:35]                  // 00000001064C: D3B14022 18024520
	v_accvgpr_write_b32 a186, v34                              // 000000010654: D3D940BA 18000122
	v_accvgpr_write_b32 a187, v35                              // 00000001065C: D3D940BB 18000123
	v_accvgpr_read_b32 v34, a188                               // 000000010664: D3D84022 180001BC
	v_accvgpr_read_b32 v35, a189                               // 00000001066C: D3D84023 180001BD
	v_pk_mul_f32 v[34:35], v[32:33], v[34:35]                  // 000000010674: D3B14022 18024520
	v_accvgpr_write_b32 a188, v34                              // 00000001067C: D3D940BC 18000122
	v_accvgpr_write_b32 a189, v35                              // 000000010684: D3D940BD 18000123
	v_accvgpr_read_b32 v34, a190                               // 00000001068C: D3D84022 180001BE
	v_accvgpr_read_b32 v35, a191                               // 000000010694: D3D84023 180001BF
	v_pk_mul_f32 v[34:35], v[32:33], v[34:35]                  // 00000001069C: D3B14022 18024520
	v_accvgpr_write_b32 a190, v34                              // 0000000106A4: D3D940BE 18000122
	v_accvgpr_write_b32 a191, v35                              // 0000000106AC: D3D940BF 18000123
	v_accvgpr_read_b32 v34, a192                               // 0000000106B4: D3D84022 180001C0
	v_accvgpr_read_b32 v35, a193                               // 0000000106BC: D3D84023 180001C1
	v_pk_mul_f32 v[34:35], v[32:33], v[34:35]                  // 0000000106C4: D3B14022 18024520
	v_accvgpr_write_b32 a192, v34                              // 0000000106CC: D3D940C0 18000122
	v_accvgpr_write_b32 a193, v35                              // 0000000106D4: D3D940C1 18000123
	v_accvgpr_read_b32 v34, a194                               // 0000000106DC: D3D84022 180001C2
	v_accvgpr_read_b32 v35, a195                               // 0000000106E4: D3D84023 180001C3
	v_pk_mul_f32 v[34:35], v[32:33], v[34:35]                  // 0000000106EC: D3B14022 18024520
	v_accvgpr_write_b32 a194, v34                              // 0000000106F4: D3D940C2 18000122
	v_accvgpr_write_b32 a195, v35                              // 0000000106FC: D3D940C3 18000123
	v_accvgpr_read_b32 v34, a196                               // 000000010704: D3D84022 180001C4
	v_accvgpr_read_b32 v35, a197                               // 00000001070C: D3D84023 180001C5
	v_pk_mul_f32 v[34:35], v[32:33], v[34:35]                  // 000000010714: D3B14022 18024520
	v_accvgpr_write_b32 a196, v34                              // 00000001071C: D3D940C4 18000122
	v_accvgpr_write_b32 a197, v35                              // 000000010724: D3D940C5 18000123
	v_accvgpr_read_b32 v34, a198                               // 00000001072C: D3D84022 180001C6
	v_accvgpr_read_b32 v35, a199                               // 000000010734: D3D84023 180001C7
	v_pk_mul_f32 v[34:35], v[32:33], v[34:35]                  // 00000001073C: D3B14022 18024520
	v_accvgpr_write_b32 a198, v34                              // 000000010744: D3D940C6 18000122
	v_accvgpr_write_b32 a199, v35                              // 00000001074C: D3D940C7 18000123
	v_accvgpr_read_b32 v34, a200                               // 000000010754: D3D84022 180001C8
	v_accvgpr_read_b32 v35, a201                               // 00000001075C: D3D84023 180001C9
	v_pk_mul_f32 v[34:35], v[32:33], v[34:35]                  // 000000010764: D3B14022 18024520
	v_accvgpr_write_b32 a200, v34                              // 00000001076C: D3D940C8 18000122
	v_accvgpr_write_b32 a201, v35                              // 000000010774: D3D940C9 18000123
	v_accvgpr_read_b32 v34, a202                               // 00000001077C: D3D84022 180001CA
	v_accvgpr_read_b32 v35, a203                               // 000000010784: D3D84023 180001CB
	v_pk_mul_f32 v[34:35], v[32:33], v[34:35]                  // 00000001078C: D3B14022 18024520
	v_accvgpr_write_b32 a202, v34                              // 000000010794: D3D940CA 18000122
	v_accvgpr_write_b32 a203, v35                              // 00000001079C: D3D940CB 18000123
	v_accvgpr_read_b32 v34, a204                               // 0000000107A4: D3D84022 180001CC
	v_accvgpr_read_b32 v35, a205                               // 0000000107AC: D3D84023 180001CD
	v_pk_mul_f32 v[34:35], v[32:33], v[34:35]                  // 0000000107B4: D3B14022 18024520
	v_accvgpr_write_b32 a204, v34                              // 0000000107BC: D3D940CC 18000122
	v_accvgpr_write_b32 a205, v35                              // 0000000107C4: D3D940CD 18000123
	v_accvgpr_read_b32 v34, a206                               // 0000000107CC: D3D84022 180001CE
	v_accvgpr_read_b32 v35, a207                               // 0000000107D4: D3D84023 180001CF
	v_pk_mul_f32 v[34:35], v[32:33], v[34:35]                  // 0000000107DC: D3B14022 18024520
	v_accvgpr_write_b32 a206, v34                              // 0000000107E4: D3D940CE 18000122
	v_accvgpr_write_b32 a207, v35                              // 0000000107EC: D3D940CF 18000123
	v_accvgpr_read_b32 v34, a208                               // 0000000107F4: D3D84022 180001D0
	v_accvgpr_read_b32 v35, a209                               // 0000000107FC: D3D84023 180001D1
	v_pk_mul_f32 v[34:35], v[32:33], v[34:35]                  // 000000010804: D3B14022 18024520
	v_accvgpr_write_b32 a208, v34                              // 00000001080C: D3D940D0 18000122
	v_accvgpr_write_b32 a209, v35                              // 000000010814: D3D940D1 18000123
	v_accvgpr_read_b32 v34, a210                               // 00000001081C: D3D84022 180001D2
	v_accvgpr_read_b32 v35, a211                               // 000000010824: D3D84023 180001D3
	v_pk_mul_f32 v[34:35], v[32:33], v[34:35]                  // 00000001082C: D3B14022 18024520
	v_accvgpr_write_b32 a210, v34                              // 000000010834: D3D940D2 18000122
	v_accvgpr_write_b32 a211, v35                              // 00000001083C: D3D940D3 18000123
	v_accvgpr_read_b32 v34, a212                               // 000000010844: D3D84022 180001D4
	v_accvgpr_read_b32 v35, a213                               // 00000001084C: D3D84023 180001D5
	v_pk_mul_f32 v[34:35], v[32:33], v[34:35]                  // 000000010854: D3B14022 18024520
	v_accvgpr_write_b32 a212, v34                              // 00000001085C: D3D940D4 18000122
	v_accvgpr_write_b32 a213, v35                              // 000000010864: D3D940D5 18000123
	v_accvgpr_read_b32 v34, a214                               // 00000001086C: D3D84022 180001D6
	v_accvgpr_read_b32 v35, a215                               // 000000010874: D3D84023 180001D7
	v_pk_mul_f32 v[34:35], v[32:33], v[34:35]                  // 00000001087C: D3B14022 18024520
	v_accvgpr_write_b32 a214, v34                              // 000000010884: D3D940D6 18000122
	v_accvgpr_write_b32 a215, v35                              // 00000001088C: D3D940D7 18000123
	v_accvgpr_read_b32 v34, a216                               // 000000010894: D3D84022 180001D8
	v_accvgpr_read_b32 v35, a217                               // 00000001089C: D3D84023 180001D9
	v_pk_mul_f32 v[34:35], v[32:33], v[34:35]                  // 0000000108A4: D3B14022 18024520
	v_accvgpr_write_b32 a216, v34                              // 0000000108AC: D3D940D8 18000122
	v_accvgpr_write_b32 a217, v35                              // 0000000108B4: D3D940D9 18000123
	v_accvgpr_read_b32 v34, a218                               // 0000000108BC: D3D84022 180001DA
	v_accvgpr_read_b32 v35, a219                               // 0000000108C4: D3D84023 180001DB
	v_pk_mul_f32 v[34:35], v[32:33], v[34:35]                  // 0000000108CC: D3B14022 18024520
	v_accvgpr_write_b32 a218, v34                              // 0000000108D4: D3D940DA 18000122
	v_accvgpr_write_b32 a219, v35                              // 0000000108DC: D3D940DB 18000123
	v_accvgpr_read_b32 v34, a220                               // 0000000108E4: D3D84022 180001DC
	v_accvgpr_read_b32 v35, a221                               // 0000000108EC: D3D84023 180001DD
	v_pk_mul_f32 v[34:35], v[32:33], v[34:35]                  // 0000000108F4: D3B14022 18024520
	v_accvgpr_write_b32 a220, v34                              // 0000000108FC: D3D940DC 18000122
	v_accvgpr_write_b32 a221, v35                              // 000000010904: D3D940DD 18000123
	v_accvgpr_read_b32 v34, a222                               // 00000001090C: D3D84022 180001DE
	v_accvgpr_read_b32 v35, a223                               // 000000010914: D3D84023 180001DF
	v_pk_mul_f32 v[34:35], v[32:33], v[34:35]                  // 00000001091C: D3B14022 18024520
	v_accvgpr_write_b32 a222, v34                              // 000000010924: D3D940DE 18000122
	v_accvgpr_write_b32 a223, v35                              // 00000001092C: D3D940DF 18000123
	v_accvgpr_read_b32 v34, a224                               // 000000010934: D3D84022 180001E0
	v_accvgpr_read_b32 v35, a225                               // 00000001093C: D3D84023 180001E1
	v_pk_mul_f32 v[34:35], v[32:33], v[34:35]                  // 000000010944: D3B14022 18024520
	v_accvgpr_write_b32 a224, v34                              // 00000001094C: D3D940E0 18000122
	v_accvgpr_write_b32 a225, v35                              // 000000010954: D3D940E1 18000123
	v_accvgpr_read_b32 v34, a226                               // 00000001095C: D3D84022 180001E2
	v_accvgpr_read_b32 v35, a227                               // 000000010964: D3D84023 180001E3
	v_pk_mul_f32 v[34:35], v[32:33], v[34:35]                  // 00000001096C: D3B14022 18024520
	v_accvgpr_write_b32 a226, v34                              // 000000010974: D3D940E2 18000122
	v_accvgpr_write_b32 a227, v35                              // 00000001097C: D3D940E3 18000123
	v_accvgpr_read_b32 v34, a228                               // 000000010984: D3D84022 180001E4
	v_accvgpr_read_b32 v35, a229                               // 00000001098C: D3D84023 180001E5
	v_pk_mul_f32 v[34:35], v[32:33], v[34:35]                  // 000000010994: D3B14022 18024520
	v_accvgpr_write_b32 a228, v34                              // 00000001099C: D3D940E4 18000122
	v_accvgpr_write_b32 a229, v35                              // 0000000109A4: D3D940E5 18000123
	v_accvgpr_read_b32 v34, a230                               // 0000000109AC: D3D84022 180001E6
	v_accvgpr_read_b32 v35, a231                               // 0000000109B4: D3D84023 180001E7
	v_pk_mul_f32 v[34:35], v[32:33], v[34:35]                  // 0000000109BC: D3B14022 18024520
	v_accvgpr_write_b32 a230, v34                              // 0000000109C4: D3D940E6 18000122
	v_accvgpr_write_b32 a231, v35                              // 0000000109CC: D3D940E7 18000123
	v_accvgpr_read_b32 v34, a232                               // 0000000109D4: D3D84022 180001E8
	v_accvgpr_read_b32 v35, a233                               // 0000000109DC: D3D84023 180001E9
	v_pk_mul_f32 v[34:35], v[32:33], v[34:35]                  // 0000000109E4: D3B14022 18024520
	v_accvgpr_write_b32 a232, v34                              // 0000000109EC: D3D940E8 18000122
	v_accvgpr_write_b32 a233, v35                              // 0000000109F4: D3D940E9 18000123
	v_accvgpr_read_b32 v34, a234                               // 0000000109FC: D3D84022 180001EA
	v_accvgpr_read_b32 v35, a235                               // 000000010A04: D3D84023 180001EB
	v_pk_mul_f32 v[34:35], v[32:33], v[34:35]                  // 000000010A0C: D3B14022 18024520
	v_accvgpr_write_b32 a234, v34                              // 000000010A14: D3D940EA 18000122
	v_accvgpr_write_b32 a235, v35                              // 000000010A1C: D3D940EB 18000123
	v_accvgpr_read_b32 v34, a236                               // 000000010A24: D3D84022 180001EC
	v_accvgpr_read_b32 v35, a237                               // 000000010A2C: D3D84023 180001ED
	v_pk_mul_f32 v[34:35], v[32:33], v[34:35]                  // 000000010A34: D3B14022 18024520
	v_accvgpr_write_b32 a236, v34                              // 000000010A3C: D3D940EC 18000122
	v_accvgpr_write_b32 a237, v35                              // 000000010A44: D3D940ED 18000123
	v_accvgpr_read_b32 v34, a238                               // 000000010A4C: D3D84022 180001EE
	v_accvgpr_read_b32 v35, a239                               // 000000010A54: D3D84023 180001EF
	v_pk_mul_f32 v[34:35], v[32:33], v[34:35]                  // 000000010A5C: D3B14022 18024520
	v_accvgpr_write_b32 a238, v34                              // 000000010A64: D3D940EE 18000122
	v_accvgpr_write_b32 a239, v35                              // 000000010A6C: D3D940EF 18000123
	s_cmp_lt_i32 s87, 0                                        // 000000010A74: BF048057
	s_cbranch_scc1 label_FAA8                                  // 000000010A78: BF850489
	s_mul_i32 s75, 0x800, s90                                  // 000000010A7C: 924B5AFF 00000800
	s_mul_i32 s56, s87, s75                                    // 000000010A84: 92384B57
	s_add_u32 s8, s56, s8                                      // 000000010A88: 80080838
	s_addc_u32 s9, 0, s9                                       // 000000010A8C: 82090980
	s_mul_i32 s56, s75, s81                                    // 000000010A90: 9238514B
	s_mov_b32 s10, s56                                         // 000000010A94: BE8A0038
	s_mul_i32 s56, s75, s81                                    // 000000010A98: 9238514B
	s_mov_b32 s10, s56                                         // 000000010A9C: BE8A0038
	s_mul_i32 s56, s7, 0x10000                                 // 000000010AA0: 9238FF07 00010000
	v_lshrrev_b32_e32 v7, 2, v0                                // 000000010AA8: 200E0082
	s_mov_b32 s57, 0x800                                       // 000000010AAC: BEB900FF 00000800
	v_mul_i32_i24_e32 v7, s57, v7                              // 000000010AB4: 0C0E0E39
	v_and_b32_e32 v28, 3, v0                                   // 000000010AB8: 26380083
	v_lshlrev_b32_e32 v28, 4, v28                              // 000000010ABC: 24383884
	v_add_u32_e32 v7, v28, v7                                  // 000000010AC0: 680E0F1C
	v_add_u32_e32 v7, s56, v7                                  // 000000010AC4: 680E0E38
	s_mov_b32 s57, 0x8000                                      // 000000010AC8: BEB900FF 00008000
	v_add_u32_e32 v8, s57, v7                                  // 000000010AD0: 68100E39
	s_mul_i32 s57, 4, s90                                      // 000000010AD4: 92395A84
	s_mul_i32 s56, s87, s57                                    // 000000010AD8: 92383957
	s_add_u32 s12, s56, s12                                    // 000000010ADC: 800C0C38
	s_addc_u32 s13, 0, s13                                     // 000000010AE0: 820D0D80
	s_mul_i32 s56, s81, s57                                    // 000000010AE4: 92383951
	s_mov_b32 s14, s56                                         // 000000010AE8: BE8E0038
	v_and_b32_e32 v9, 31, v0                                   // 000000010AEC: 2612009F
	v_lshlrev_b32_e32 v9, 2, v9                                // 000000010AF0: 24121282
	s_mul_i32 s56, s7, 0x80                                    // 000000010AF4: 9238FF07 00000080
	v_add_u32_e64 v9, v9, s56                                  // 000000010AFC: D1340009 00007109
	v_and_b32_e32 v28, 1, v0                                   // 000000010B04: 26380081
	v_lshlrev_b32_e32 v28, 5, v28                              // 000000010B08: 24383885
	v_and_b32_e32 v29, 3, v0                                   // 000000010B0C: 263A0083
	v_lshrrev_b32_e32 v29, 1, v29                              // 000000010B10: 203A3A81
	v_lshlrev_b32_e32 v29, 4, v29                              // 000000010B14: 243A3A84
	v_add_u32_e32 v28, v28, v29                                // 000000010B18: 68383B1C
	v_lshrrev_b32_e32 v29, 2, v0                               // 000000010B1C: 203A0082
	v_add_u32_e32 v28, v28, v29                                // 000000010B20: 68383B1C
	v_lshlrev_b32_e32 v28, 2, v28                              // 000000010B24: 24383882
	v_lshlrev_b32_e32 v30, 4, v0                               // 000000010B28: 243C0084
	v_permlane16_swap_b32_e32 v64, v68                         // 000000010B2C: 7E80B344
	v_permlane16_swap_b32_e32 v65, v69                         // 000000010B30: 7E82B345
	v_permlane16_swap_b32_e32 v66, v70                         // 000000010B34: 7E84B346
	v_permlane16_swap_b32_e32 v67, v71                         // 000000010B38: 7E86B347
	ds_bpermute_b32 v32, v28, v64                              // 000000010B3C: D87E0000 2000401C
	ds_bpermute_b32 v33, v28, v65                              // 000000010B44: D87E0000 2100411C
	ds_bpermute_b32 v34, v28, v66                              // 000000010B4C: D87E0000 2200421C
	ds_bpermute_b32 v35, v28, v67                              // 000000010B54: D87E0000 2300431C
	ds_bpermute_b32 v36, v28, v68                              // 000000010B5C: D87E0000 2400441C
	ds_bpermute_b32 v37, v28, v69                              // 000000010B64: D87E0000 2500451C
	ds_bpermute_b32 v38, v28, v70                              // 000000010B6C: D87E0000 2600461C
	ds_bpermute_b32 v39, v28, v71                              // 000000010B74: D87E0000 2700471C
	v_permlane16_swap_b32_e32 v72, v76                         // 000000010B7C: 7E90B34C
	v_permlane16_swap_b32_e32 v73, v77                         // 000000010B80: 7E92B34D
	v_permlane16_swap_b32_e32 v74, v78                         // 000000010B84: 7E94B34E
	v_permlane16_swap_b32_e32 v75, v79                         // 000000010B88: 7E96B34F
	ds_bpermute_b32 v40, v28, v72                              // 000000010B8C: D87E0000 2800481C
	ds_bpermute_b32 v41, v28, v73                              // 000000010B94: D87E0000 2900491C
	ds_bpermute_b32 v42, v28, v74                              // 000000010B9C: D87E0000 2A004A1C
	ds_bpermute_b32 v43, v28, v75                              // 000000010BA4: D87E0000 2B004B1C
	ds_bpermute_b32 v44, v28, v76                              // 000000010BAC: D87E0000 2C004C1C
	ds_bpermute_b32 v45, v28, v77                              // 000000010BB4: D87E0000 2D004D1C
	ds_bpermute_b32 v46, v28, v78                              // 000000010BBC: D87E0000 2E004E1C
	ds_bpermute_b32 v47, v28, v79                              // 000000010BC4: D87E0000 2F004F1C
	s_waitcnt lgkmcnt(12)                                      // 000000010BCC: BF8CCC7F
	buffer_store_dwordx4 v[32:35], v7, s[8:11], 0 offen        // 000000010BD0: E07C1000 80022007
	s_waitcnt lgkmcnt(8)                                       // 000000010BD8: BF8CC87F
	buffer_store_dwordx4 v[36:39], v8, s[8:11], 0 offen        // 000000010BDC: E07C1000 80022408
	s_mov_b32 s56, 64                                          // 000000010BE4: BEB800C0
	v_add_u32_e32 v7, s56, v7                                  // 000000010BE8: 680E0E38
	v_add_u32_e32 v8, s56, v8                                  // 000000010BEC: 68101038
	s_waitcnt lgkmcnt(4)                                       // 000000010BF0: BF8CC47F
	buffer_store_dwordx4 v[40:43], v7, s[8:11], 0 offen        // 000000010BF4: E07C1000 80022807
	s_waitcnt lgkmcnt(0)                                       // 000000010BFC: BF8CC07F
	buffer_store_dwordx4 v[44:47], v8, s[8:11], 0 offen        // 000000010C00: E07C1000 80022C08
	v_add_u32_e32 v7, s56, v7                                  // 000000010C08: 680E0E38
	v_add_u32_e32 v8, s56, v8                                  // 000000010C0C: 68101038
	v_permlane16_swap_b32_e32 v80, v84                         // 000000010C10: 7EA0B354
	v_permlane16_swap_b32_e32 v81, v85                         // 000000010C14: 7EA2B355
	v_permlane16_swap_b32_e32 v82, v86                         // 000000010C18: 7EA4B356
	v_permlane16_swap_b32_e32 v83, v87                         // 000000010C1C: 7EA6B357
	ds_bpermute_b32 v32, v28, v80                              // 000000010C20: D87E0000 2000501C
	ds_bpermute_b32 v33, v28, v81                              // 000000010C28: D87E0000 2100511C
	ds_bpermute_b32 v34, v28, v82                              // 000000010C30: D87E0000 2200521C
	ds_bpermute_b32 v35, v28, v83                              // 000000010C38: D87E0000 2300531C
	ds_bpermute_b32 v36, v28, v84                              // 000000010C40: D87E0000 2400541C
	ds_bpermute_b32 v37, v28, v85                              // 000000010C48: D87E0000 2500551C
	ds_bpermute_b32 v38, v28, v86                              // 000000010C50: D87E0000 2600561C
	ds_bpermute_b32 v39, v28, v87                              // 000000010C58: D87E0000 2700571C
	v_permlane16_swap_b32_e32 v88, v92                         // 000000010C60: 7EB0B35C
	v_permlane16_swap_b32_e32 v89, v93                         // 000000010C64: 7EB2B35D
	v_permlane16_swap_b32_e32 v90, v94                         // 000000010C68: 7EB4B35E
	v_permlane16_swap_b32_e32 v91, v95                         // 000000010C6C: 7EB6B35F
	ds_bpermute_b32 v40, v28, v88                              // 000000010C70: D87E0000 2800581C
	ds_bpermute_b32 v41, v28, v89                              // 000000010C78: D87E0000 2900591C
	ds_bpermute_b32 v42, v28, v90                              // 000000010C80: D87E0000 2A005A1C
	ds_bpermute_b32 v43, v28, v91                              // 000000010C88: D87E0000 2B005B1C
	ds_bpermute_b32 v44, v28, v92                              // 000000010C90: D87E0000 2C005C1C
	ds_bpermute_b32 v45, v28, v93                              // 000000010C98: D87E0000 2D005D1C
	ds_bpermute_b32 v46, v28, v94                              // 000000010CA0: D87E0000 2E005E1C
	ds_bpermute_b32 v47, v28, v95                              // 000000010CA8: D87E0000 2F005F1C
	s_waitcnt lgkmcnt(12)                                      // 000000010CB0: BF8CCC7F
	buffer_store_dwordx4 v[32:35], v7, s[8:11], 0 offen        // 000000010CB4: E07C1000 80022007
	s_waitcnt lgkmcnt(8)                                       // 000000010CBC: BF8CC87F
	buffer_store_dwordx4 v[36:39], v8, s[8:11], 0 offen        // 000000010CC0: E07C1000 80022408
	s_mov_b32 s56, 64                                          // 000000010CC8: BEB800C0
	v_add_u32_e32 v7, s56, v7                                  // 000000010CCC: 680E0E38
	v_add_u32_e32 v8, s56, v8                                  // 000000010CD0: 68101038
	s_waitcnt lgkmcnt(4)                                       // 000000010CD4: BF8CC47F
	buffer_store_dwordx4 v[40:43], v7, s[8:11], 0 offen        // 000000010CD8: E07C1000 80022807
	s_waitcnt lgkmcnt(0)                                       // 000000010CE0: BF8CC07F
	buffer_store_dwordx4 v[44:47], v8, s[8:11], 0 offen        // 000000010CE4: E07C1000 80022C08
	v_add_u32_e32 v7, s56, v7                                  // 000000010CEC: 680E0E38
	v_add_u32_e32 v8, s56, v8                                  // 000000010CF0: 68101038
	v_permlane16_swap_b32_e32 v96, v100                        // 000000010CF4: 7EC0B364
	v_permlane16_swap_b32_e32 v97, v101                        // 000000010CF8: 7EC2B365
	v_permlane16_swap_b32_e32 v98, v102                        // 000000010CFC: 7EC4B366
	v_permlane16_swap_b32_e32 v99, v103                        // 000000010D00: 7EC6B367
	ds_bpermute_b32 v32, v28, v96                              // 000000010D04: D87E0000 2000601C
	ds_bpermute_b32 v33, v28, v97                              // 000000010D0C: D87E0000 2100611C
	ds_bpermute_b32 v34, v28, v98                              // 000000010D14: D87E0000 2200621C
	ds_bpermute_b32 v35, v28, v99                              // 000000010D1C: D87E0000 2300631C
	ds_bpermute_b32 v36, v28, v100                             // 000000010D24: D87E0000 2400641C
	ds_bpermute_b32 v37, v28, v101                             // 000000010D2C: D87E0000 2500651C
	ds_bpermute_b32 v38, v28, v102                             // 000000010D34: D87E0000 2600661C
	ds_bpermute_b32 v39, v28, v103                             // 000000010D3C: D87E0000 2700671C
	v_permlane16_swap_b32_e32 v104, v108                       // 000000010D44: 7ED0B36C
	v_permlane16_swap_b32_e32 v105, v109                       // 000000010D48: 7ED2B36D
	v_permlane16_swap_b32_e32 v106, v110                       // 000000010D4C: 7ED4B36E
	v_permlane16_swap_b32_e32 v107, v111                       // 000000010D50: 7ED6B36F
	ds_bpermute_b32 v40, v28, v104                             // 000000010D54: D87E0000 2800681C
	ds_bpermute_b32 v41, v28, v105                             // 000000010D5C: D87E0000 2900691C
	ds_bpermute_b32 v42, v28, v106                             // 000000010D64: D87E0000 2A006A1C
	ds_bpermute_b32 v43, v28, v107                             // 000000010D6C: D87E0000 2B006B1C
	ds_bpermute_b32 v44, v28, v108                             // 000000010D74: D87E0000 2C006C1C
	ds_bpermute_b32 v45, v28, v109                             // 000000010D7C: D87E0000 2D006D1C
	ds_bpermute_b32 v46, v28, v110                             // 000000010D84: D87E0000 2E006E1C
	ds_bpermute_b32 v47, v28, v111                             // 000000010D8C: D87E0000 2F006F1C
	s_waitcnt lgkmcnt(12)                                      // 000000010D94: BF8CCC7F
	buffer_store_dwordx4 v[32:35], v7, s[8:11], 0 offen        // 000000010D98: E07C1000 80022007
	s_waitcnt lgkmcnt(8)                                       // 000000010DA0: BF8CC87F
	buffer_store_dwordx4 v[36:39], v8, s[8:11], 0 offen        // 000000010DA4: E07C1000 80022408
	s_mov_b32 s56, 64                                          // 000000010DAC: BEB800C0
	v_add_u32_e32 v7, s56, v7                                  // 000000010DB0: 680E0E38
	v_add_u32_e32 v8, s56, v8                                  // 000000010DB4: 68101038
	s_waitcnt lgkmcnt(4)                                       // 000000010DB8: BF8CC47F
	buffer_store_dwordx4 v[40:43], v7, s[8:11], 0 offen        // 000000010DBC: E07C1000 80022807
	s_waitcnt lgkmcnt(0)                                       // 000000010DC4: BF8CC07F
	buffer_store_dwordx4 v[44:47], v8, s[8:11], 0 offen        // 000000010DC8: E07C1000 80022C08
	v_add_u32_e32 v7, s56, v7                                  // 000000010DD0: 680E0E38
	v_add_u32_e32 v8, s56, v8                                  // 000000010DD4: 68101038
	v_permlane16_swap_b32_e32 v112, v116                       // 000000010DD8: 7EE0B374
	v_permlane16_swap_b32_e32 v113, v117                       // 000000010DDC: 7EE2B375
	v_permlane16_swap_b32_e32 v114, v118                       // 000000010DE0: 7EE4B376
	v_permlane16_swap_b32_e32 v115, v119                       // 000000010DE4: 7EE6B377
	ds_bpermute_b32 v32, v28, v112                             // 000000010DE8: D87E0000 2000701C
	ds_bpermute_b32 v33, v28, v113                             // 000000010DF0: D87E0000 2100711C
	ds_bpermute_b32 v34, v28, v114                             // 000000010DF8: D87E0000 2200721C
	ds_bpermute_b32 v35, v28, v115                             // 000000010E00: D87E0000 2300731C
	ds_bpermute_b32 v36, v28, v116                             // 000000010E08: D87E0000 2400741C
	ds_bpermute_b32 v37, v28, v117                             // 000000010E10: D87E0000 2500751C
	ds_bpermute_b32 v38, v28, v118                             // 000000010E18: D87E0000 2600761C
	ds_bpermute_b32 v39, v28, v119                             // 000000010E20: D87E0000 2700771C
	v_permlane16_swap_b32_e32 v120, v124                       // 000000010E28: 7EF0B37C
	v_permlane16_swap_b32_e32 v121, v125                       // 000000010E2C: 7EF2B37D
	v_permlane16_swap_b32_e32 v122, v126                       // 000000010E30: 7EF4B37E
	v_permlane16_swap_b32_e32 v123, v127                       // 000000010E34: 7EF6B37F
	ds_bpermute_b32 v40, v28, v120                             // 000000010E38: D87E0000 2800781C
	ds_bpermute_b32 v41, v28, v121                             // 000000010E40: D87E0000 2900791C
	ds_bpermute_b32 v42, v28, v122                             // 000000010E48: D87E0000 2A007A1C
	ds_bpermute_b32 v43, v28, v123                             // 000000010E50: D87E0000 2B007B1C
	ds_bpermute_b32 v44, v28, v124                             // 000000010E58: D87E0000 2C007C1C
	ds_bpermute_b32 v45, v28, v125                             // 000000010E60: D87E0000 2D007D1C
	ds_bpermute_b32 v46, v28, v126                             // 000000010E68: D87E0000 2E007E1C
	ds_bpermute_b32 v47, v28, v127                             // 000000010E70: D87E0000 2F007F1C
	s_waitcnt lgkmcnt(12)                                      // 000000010E78: BF8CCC7F
	buffer_store_dwordx4 v[32:35], v7, s[8:11], 0 offen        // 000000010E7C: E07C1000 80022007
	s_waitcnt lgkmcnt(8)                                       // 000000010E84: BF8CC87F
	buffer_store_dwordx4 v[36:39], v8, s[8:11], 0 offen        // 000000010E88: E07C1000 80022408
	s_mov_b32 s56, 64                                          // 000000010E90: BEB800C0
	v_add_u32_e32 v7, s56, v7                                  // 000000010E94: 680E0E38
	v_add_u32_e32 v8, s56, v8                                  // 000000010E98: 68101038
	s_waitcnt lgkmcnt(4)                                       // 000000010E9C: BF8CC47F
	buffer_store_dwordx4 v[40:43], v7, s[8:11], 0 offen        // 000000010EA0: E07C1000 80022807
	s_waitcnt lgkmcnt(0)                                       // 000000010EA8: BF8CC07F
	buffer_store_dwordx4 v[44:47], v8, s[8:11], 0 offen        // 000000010EAC: E07C1000 80022C08
	v_add_u32_e32 v7, s56, v7                                  // 000000010EB4: 680E0E38
	v_add_u32_e32 v8, s56, v8                                  // 000000010EB8: 68101038
	v_permlane16_swap_b32_e32 v128, v132                       // 000000010EBC: 7F00B384
	v_permlane16_swap_b32_e32 v129, v133                       // 000000010EC0: 7F02B385
	v_permlane16_swap_b32_e32 v130, v134                       // 000000010EC4: 7F04B386
	v_permlane16_swap_b32_e32 v131, v135                       // 000000010EC8: 7F06B387
	ds_bpermute_b32 v32, v28, v128                             // 000000010ECC: D87E0000 2000801C
	ds_bpermute_b32 v33, v28, v129                             // 000000010ED4: D87E0000 2100811C
	ds_bpermute_b32 v34, v28, v130                             // 000000010EDC: D87E0000 2200821C
	ds_bpermute_b32 v35, v28, v131                             // 000000010EE4: D87E0000 2300831C
	ds_bpermute_b32 v36, v28, v132                             // 000000010EEC: D87E0000 2400841C
	ds_bpermute_b32 v37, v28, v133                             // 000000010EF4: D87E0000 2500851C
	ds_bpermute_b32 v38, v28, v134                             // 000000010EFC: D87E0000 2600861C
	ds_bpermute_b32 v39, v28, v135                             // 000000010F04: D87E0000 2700871C
	v_permlane16_swap_b32_e32 v136, v140                       // 000000010F0C: 7F10B38C
	v_permlane16_swap_b32_e32 v137, v141                       // 000000010F10: 7F12B38D
	v_permlane16_swap_b32_e32 v138, v142                       // 000000010F14: 7F14B38E
	v_permlane16_swap_b32_e32 v139, v143                       // 000000010F18: 7F16B38F
	ds_bpermute_b32 v40, v28, v136                             // 000000010F1C: D87E0000 2800881C
	ds_bpermute_b32 v41, v28, v137                             // 000000010F24: D87E0000 2900891C
	ds_bpermute_b32 v42, v28, v138                             // 000000010F2C: D87E0000 2A008A1C
	ds_bpermute_b32 v43, v28, v139                             // 000000010F34: D87E0000 2B008B1C
	ds_bpermute_b32 v44, v28, v140                             // 000000010F3C: D87E0000 2C008C1C
	ds_bpermute_b32 v45, v28, v141                             // 000000010F44: D87E0000 2D008D1C
	ds_bpermute_b32 v46, v28, v142                             // 000000010F4C: D87E0000 2E008E1C
	ds_bpermute_b32 v47, v28, v143                             // 000000010F54: D87E0000 2F008F1C
	s_waitcnt lgkmcnt(12)                                      // 000000010F5C: BF8CCC7F
	buffer_store_dwordx4 v[32:35], v7, s[8:11], 0 offen        // 000000010F60: E07C1000 80022007
	s_waitcnt lgkmcnt(8)                                       // 000000010F68: BF8CC87F
	buffer_store_dwordx4 v[36:39], v8, s[8:11], 0 offen        // 000000010F6C: E07C1000 80022408
	s_mov_b32 s56, 64                                          // 000000010F74: BEB800C0
	v_add_u32_e32 v7, s56, v7                                  // 000000010F78: 680E0E38
	v_add_u32_e32 v8, s56, v8                                  // 000000010F7C: 68101038
	s_waitcnt lgkmcnt(4)                                       // 000000010F80: BF8CC47F
	buffer_store_dwordx4 v[40:43], v7, s[8:11], 0 offen        // 000000010F84: E07C1000 80022807
	s_waitcnt lgkmcnt(0)                                       // 000000010F8C: BF8CC07F
	buffer_store_dwordx4 v[44:47], v8, s[8:11], 0 offen        // 000000010F90: E07C1000 80022C08
	v_add_u32_e32 v7, s56, v7                                  // 000000010F98: 680E0E38
	v_add_u32_e32 v8, s56, v8                                  // 000000010F9C: 68101038
	v_permlane16_swap_b32_e32 v144, v148                       // 000000010FA0: 7F20B394
	v_permlane16_swap_b32_e32 v145, v149                       // 000000010FA4: 7F22B395
	v_permlane16_swap_b32_e32 v146, v150                       // 000000010FA8: 7F24B396
	v_permlane16_swap_b32_e32 v147, v151                       // 000000010FAC: 7F26B397
	ds_bpermute_b32 v32, v28, v144                             // 000000010FB0: D87E0000 2000901C
	ds_bpermute_b32 v33, v28, v145                             // 000000010FB8: D87E0000 2100911C
	ds_bpermute_b32 v34, v28, v146                             // 000000010FC0: D87E0000 2200921C
	ds_bpermute_b32 v35, v28, v147                             // 000000010FC8: D87E0000 2300931C
	ds_bpermute_b32 v36, v28, v148                             // 000000010FD0: D87E0000 2400941C
	ds_bpermute_b32 v37, v28, v149                             // 000000010FD8: D87E0000 2500951C
	ds_bpermute_b32 v38, v28, v150                             // 000000010FE0: D87E0000 2600961C
	ds_bpermute_b32 v39, v28, v151                             // 000000010FE8: D87E0000 2700971C
	v_permlane16_swap_b32_e32 v152, v156                       // 000000010FF0: 7F30B39C
	v_permlane16_swap_b32_e32 v153, v157                       // 000000010FF4: 7F32B39D
	v_permlane16_swap_b32_e32 v154, v158                       // 000000010FF8: 7F34B39E
	v_permlane16_swap_b32_e32 v155, v159                       // 000000010FFC: 7F36B39F
	ds_bpermute_b32 v40, v28, v152                             // 000000011000: D87E0000 2800981C
	ds_bpermute_b32 v41, v28, v153                             // 000000011008: D87E0000 2900991C
	ds_bpermute_b32 v42, v28, v154                             // 000000011010: D87E0000 2A009A1C
	ds_bpermute_b32 v43, v28, v155                             // 000000011018: D87E0000 2B009B1C
	ds_bpermute_b32 v44, v28, v156                             // 000000011020: D87E0000 2C009C1C
	ds_bpermute_b32 v45, v28, v157                             // 000000011028: D87E0000 2D009D1C
	ds_bpermute_b32 v46, v28, v158                             // 000000011030: D87E0000 2E009E1C
	ds_bpermute_b32 v47, v28, v159                             // 000000011038: D87E0000 2F009F1C
	s_waitcnt lgkmcnt(12)                                      // 000000011040: BF8CCC7F
	buffer_store_dwordx4 v[32:35], v7, s[8:11], 0 offen        // 000000011044: E07C1000 80022007
	s_waitcnt lgkmcnt(8)                                       // 00000001104C: BF8CC87F
	buffer_store_dwordx4 v[36:39], v8, s[8:11], 0 offen        // 000000011050: E07C1000 80022408
	s_mov_b32 s56, 64                                          // 000000011058: BEB800C0
	v_add_u32_e32 v7, s56, v7                                  // 00000001105C: 680E0E38
	v_add_u32_e32 v8, s56, v8                                  // 000000011060: 68101038
	s_waitcnt lgkmcnt(4)                                       // 000000011064: BF8CC47F
	buffer_store_dwordx4 v[40:43], v7, s[8:11], 0 offen        // 000000011068: E07C1000 80022807
	s_waitcnt lgkmcnt(0)                                       // 000000011070: BF8CC07F
	buffer_store_dwordx4 v[44:47], v8, s[8:11], 0 offen        // 000000011074: E07C1000 80022C08
	v_add_u32_e32 v7, s56, v7                                  // 00000001107C: 680E0E38
	v_add_u32_e32 v8, s56, v8                                  // 000000011080: 68101038
	v_permlane16_swap_b32_e32 v160, v164                       // 000000011084: 7F40B3A4
	v_permlane16_swap_b32_e32 v161, v165                       // 000000011088: 7F42B3A5
	v_permlane16_swap_b32_e32 v162, v166                       // 00000001108C: 7F44B3A6
	v_permlane16_swap_b32_e32 v163, v167                       // 000000011090: 7F46B3A7
	ds_bpermute_b32 v32, v28, v160                             // 000000011094: D87E0000 2000A01C
	ds_bpermute_b32 v33, v28, v161                             // 00000001109C: D87E0000 2100A11C
	ds_bpermute_b32 v34, v28, v162                             // 0000000110A4: D87E0000 2200A21C
	ds_bpermute_b32 v35, v28, v163                             // 0000000110AC: D87E0000 2300A31C
	ds_bpermute_b32 v36, v28, v164                             // 0000000110B4: D87E0000 2400A41C
	ds_bpermute_b32 v37, v28, v165                             // 0000000110BC: D87E0000 2500A51C
	ds_bpermute_b32 v38, v28, v166                             // 0000000110C4: D87E0000 2600A61C
	ds_bpermute_b32 v39, v28, v167                             // 0000000110CC: D87E0000 2700A71C
	v_permlane16_swap_b32_e32 v168, v172                       // 0000000110D4: 7F50B3AC
	v_permlane16_swap_b32_e32 v169, v173                       // 0000000110D8: 7F52B3AD
	v_permlane16_swap_b32_e32 v170, v174                       // 0000000110DC: 7F54B3AE
	v_permlane16_swap_b32_e32 v171, v175                       // 0000000110E0: 7F56B3AF
	ds_bpermute_b32 v40, v28, v168                             // 0000000110E4: D87E0000 2800A81C
	ds_bpermute_b32 v41, v28, v169                             // 0000000110EC: D87E0000 2900A91C
	ds_bpermute_b32 v42, v28, v170                             // 0000000110F4: D87E0000 2A00AA1C
	ds_bpermute_b32 v43, v28, v171                             // 0000000110FC: D87E0000 2B00AB1C
	ds_bpermute_b32 v44, v28, v172                             // 000000011104: D87E0000 2C00AC1C
	ds_bpermute_b32 v45, v28, v173                             // 00000001110C: D87E0000 2D00AD1C
	ds_bpermute_b32 v46, v28, v174                             // 000000011114: D87E0000 2E00AE1C
	ds_bpermute_b32 v47, v28, v175                             // 00000001111C: D87E0000 2F00AF1C
	s_waitcnt lgkmcnt(12)                                      // 000000011124: BF8CCC7F
	buffer_store_dwordx4 v[32:35], v7, s[8:11], 0 offen        // 000000011128: E07C1000 80022007
	s_waitcnt lgkmcnt(8)                                       // 000000011130: BF8CC87F
	buffer_store_dwordx4 v[36:39], v8, s[8:11], 0 offen        // 000000011134: E07C1000 80022408
	s_mov_b32 s56, 64                                          // 00000001113C: BEB800C0
	v_add_u32_e32 v7, s56, v7                                  // 000000011140: 680E0E38
	v_add_u32_e32 v8, s56, v8                                  // 000000011144: 68101038
	s_waitcnt lgkmcnt(4)                                       // 000000011148: BF8CC47F
	buffer_store_dwordx4 v[40:43], v7, s[8:11], 0 offen        // 00000001114C: E07C1000 80022807
	s_waitcnt lgkmcnt(0)                                       // 000000011154: BF8CC07F
	buffer_store_dwordx4 v[44:47], v8, s[8:11], 0 offen        // 000000011158: E07C1000 80022C08
	v_add_u32_e32 v7, s56, v7                                  // 000000011160: 680E0E38
	v_add_u32_e32 v8, s56, v8                                  // 000000011164: 68101038
	v_permlane16_swap_b32_e32 v176, v180                       // 000000011168: 7F60B3B4
	v_permlane16_swap_b32_e32 v177, v181                       // 00000001116C: 7F62B3B5
	v_permlane16_swap_b32_e32 v178, v182                       // 000000011170: 7F64B3B6
	v_permlane16_swap_b32_e32 v179, v183                       // 000000011174: 7F66B3B7
	ds_bpermute_b32 v32, v28, v176                             // 000000011178: D87E0000 2000B01C
	ds_bpermute_b32 v33, v28, v177                             // 000000011180: D87E0000 2100B11C
	ds_bpermute_b32 v34, v28, v178                             // 000000011188: D87E0000 2200B21C
	ds_bpermute_b32 v35, v28, v179                             // 000000011190: D87E0000 2300B31C
	ds_bpermute_b32 v36, v28, v180                             // 000000011198: D87E0000 2400B41C
	ds_bpermute_b32 v37, v28, v181                             // 0000000111A0: D87E0000 2500B51C
	ds_bpermute_b32 v38, v28, v182                             // 0000000111A8: D87E0000 2600B61C
	ds_bpermute_b32 v39, v28, v183                             // 0000000111B0: D87E0000 2700B71C
	v_permlane16_swap_b32_e32 v184, v188                       // 0000000111B8: 7F70B3BC
	v_permlane16_swap_b32_e32 v185, v189                       // 0000000111BC: 7F72B3BD
	v_permlane16_swap_b32_e32 v186, v190                       // 0000000111C0: 7F74B3BE
	v_permlane16_swap_b32_e32 v187, v191                       // 0000000111C4: 7F76B3BF
	ds_bpermute_b32 v40, v28, v184                             // 0000000111C8: D87E0000 2800B81C
	ds_bpermute_b32 v41, v28, v185                             // 0000000111D0: D87E0000 2900B91C
	ds_bpermute_b32 v42, v28, v186                             // 0000000111D8: D87E0000 2A00BA1C
	ds_bpermute_b32 v43, v28, v187                             // 0000000111E0: D87E0000 2B00BB1C
	ds_bpermute_b32 v44, v28, v188                             // 0000000111E8: D87E0000 2C00BC1C
	ds_bpermute_b32 v45, v28, v189                             // 0000000111F0: D87E0000 2D00BD1C
	ds_bpermute_b32 v46, v28, v190                             // 0000000111F8: D87E0000 2E00BE1C
	ds_bpermute_b32 v47, v28, v191                             // 000000011200: D87E0000 2F00BF1C
	s_waitcnt lgkmcnt(12)                                      // 000000011208: BF8CCC7F
	buffer_store_dwordx4 v[32:35], v7, s[8:11], 0 offen        // 00000001120C: E07C1000 80022007
	s_waitcnt lgkmcnt(8)                                       // 000000011214: BF8CC87F
	buffer_store_dwordx4 v[36:39], v8, s[8:11], 0 offen        // 000000011218: E07C1000 80022408
	s_mov_b32 s56, 64                                          // 000000011220: BEB800C0
	v_add_u32_e32 v7, s56, v7                                  // 000000011224: 680E0E38
	v_add_u32_e32 v8, s56, v8                                  // 000000011228: 68101038
	s_waitcnt lgkmcnt(4)                                       // 00000001122C: BF8CC47F
	buffer_store_dwordx4 v[40:43], v7, s[8:11], 0 offen        // 000000011230: E07C1000 80022807
	s_waitcnt lgkmcnt(0)                                       // 000000011238: BF8CC07F
	buffer_store_dwordx4 v[44:47], v8, s[8:11], 0 offen        // 00000001123C: E07C1000 80022C08
	v_add_u32_e32 v7, s56, v7                                  // 000000011244: 680E0E38
	v_add_u32_e32 v8, s56, v8                                  // 000000011248: 68101038
	v_permlane16_swap_b32_e32 v192, v196                       // 00000001124C: 7F80B3C4
	v_permlane16_swap_b32_e32 v193, v197                       // 000000011250: 7F82B3C5
	v_permlane16_swap_b32_e32 v194, v198                       // 000000011254: 7F84B3C6
	v_permlane16_swap_b32_e32 v195, v199                       // 000000011258: 7F86B3C7
	ds_bpermute_b32 v32, v28, v192                             // 00000001125C: D87E0000 2000C01C
	ds_bpermute_b32 v33, v28, v193                             // 000000011264: D87E0000 2100C11C
	ds_bpermute_b32 v34, v28, v194                             // 00000001126C: D87E0000 2200C21C
	ds_bpermute_b32 v35, v28, v195                             // 000000011274: D87E0000 2300C31C
	ds_bpermute_b32 v36, v28, v196                             // 00000001127C: D87E0000 2400C41C
	ds_bpermute_b32 v37, v28, v197                             // 000000011284: D87E0000 2500C51C
	ds_bpermute_b32 v38, v28, v198                             // 00000001128C: D87E0000 2600C61C
	ds_bpermute_b32 v39, v28, v199                             // 000000011294: D87E0000 2700C71C
	v_permlane16_swap_b32_e32 v200, v204                       // 00000001129C: 7F90B3CC
	v_permlane16_swap_b32_e32 v201, v205                       // 0000000112A0: 7F92B3CD
	v_permlane16_swap_b32_e32 v202, v206                       // 0000000112A4: 7F94B3CE
	v_permlane16_swap_b32_e32 v203, v207                       // 0000000112A8: 7F96B3CF
	ds_bpermute_b32 v40, v28, v200                             // 0000000112AC: D87E0000 2800C81C
	ds_bpermute_b32 v41, v28, v201                             // 0000000112B4: D87E0000 2900C91C
	ds_bpermute_b32 v42, v28, v202                             // 0000000112BC: D87E0000 2A00CA1C
	ds_bpermute_b32 v43, v28, v203                             // 0000000112C4: D87E0000 2B00CB1C
	ds_bpermute_b32 v44, v28, v204                             // 0000000112CC: D87E0000 2C00CC1C
	ds_bpermute_b32 v45, v28, v205                             // 0000000112D4: D87E0000 2D00CD1C
	ds_bpermute_b32 v46, v28, v206                             // 0000000112DC: D87E0000 2E00CE1C
	ds_bpermute_b32 v47, v28, v207                             // 0000000112E4: D87E0000 2F00CF1C
	s_waitcnt lgkmcnt(12)                                      // 0000000112EC: BF8CCC7F
	buffer_store_dwordx4 v[32:35], v7, s[8:11], 0 offen        // 0000000112F0: E07C1000 80022007
	s_waitcnt lgkmcnt(8)                                       // 0000000112F8: BF8CC87F
	buffer_store_dwordx4 v[36:39], v8, s[8:11], 0 offen        // 0000000112FC: E07C1000 80022408
	s_mov_b32 s56, 64                                          // 000000011304: BEB800C0
	v_add_u32_e32 v7, s56, v7                                  // 000000011308: 680E0E38
	v_add_u32_e32 v8, s56, v8                                  // 00000001130C: 68101038
	s_waitcnt lgkmcnt(4)                                       // 000000011310: BF8CC47F
	buffer_store_dwordx4 v[40:43], v7, s[8:11], 0 offen        // 000000011314: E07C1000 80022807
	s_waitcnt lgkmcnt(0)                                       // 00000001131C: BF8CC07F
	buffer_store_dwordx4 v[44:47], v8, s[8:11], 0 offen        // 000000011320: E07C1000 80022C08
	v_add_u32_e32 v7, s56, v7                                  // 000000011328: 680E0E38
	v_add_u32_e32 v8, s56, v8                                  // 00000001132C: 68101038
	v_permlane16_swap_b32_e32 v208, v212                       // 000000011330: 7FA0B3D4
	.long 0x7fa2b3d5                                           // 000000011334: 7FA2B3D5
	.long 0x7fa4b3d6                                           // 000000011338: 7FA4B3D6
	.long 0x7fa6b3d7                                           // 00000001133C: 7FA6B3D7
	ds_bpermute_b32 v32, v28, v208                             // 000000011340: D87E0000 2000D01C
	ds_bpermute_b32 v33, v28, v209                             // 000000011348: D87E0000 2100D11C
	ds_bpermute_b32 v34, v28, v210                             // 000000011350: D87E0000 2200D21C
	ds_bpermute_b32 v35, v28, v211                             // 000000011358: D87E0000 2300D31C
	ds_bpermute_b32 v36, v28, v212                             // 000000011360: D87E0000 2400D41C
	ds_bpermute_b32 v37, v28, v213                             // 000000011368: D87E0000 2500D51C
	ds_bpermute_b32 v38, v28, v214                             // 000000011370: D87E0000 2600D61C
	ds_bpermute_b32 v39, v28, v215                             // 000000011378: D87E0000 2700D71C
	.long 0x7fb0b3dc                                           // 000000011380: 7FB0B3DC
	.long 0x7fb2b3dd                                           // 000000011384: 7FB2B3DD
	.long 0x7fb4b3de                                           // 000000011388: 7FB4B3DE
	.long 0x7fb6b3df                                           // 00000001138C: 7FB6B3DF
	ds_bpermute_b32 v40, v28, v216                             // 000000011390: D87E0000 2800D81C
	ds_bpermute_b32 v41, v28, v217                             // 000000011398: D87E0000 2900D91C
	ds_bpermute_b32 v42, v28, v218                             // 0000000113A0: D87E0000 2A00DA1C
	ds_bpermute_b32 v43, v28, v219                             // 0000000113A8: D87E0000 2B00DB1C
	ds_bpermute_b32 v44, v28, v220                             // 0000000113B0: D87E0000 2C00DC1C
	ds_bpermute_b32 v45, v28, v221                             // 0000000113B8: D87E0000 2D00DD1C
	ds_bpermute_b32 v46, v28, v222                             // 0000000113C0: D87E0000 2E00DE1C
	ds_bpermute_b32 v47, v28, v223                             // 0000000113C8: D87E0000 2F00DF1C
	s_waitcnt lgkmcnt(12)                                      // 0000000113D0: BF8CCC7F
	buffer_store_dwordx4 v[32:35], v7, s[8:11], 0 offen        // 0000000113D4: E07C1000 80022007
	s_waitcnt lgkmcnt(8)                                       // 0000000113DC: BF8CC87F
	buffer_store_dwordx4 v[36:39], v8, s[8:11], 0 offen        // 0000000113E0: E07C1000 80022408
	s_mov_b32 s56, 64                                          // 0000000113E8: BEB800C0
	v_add_u32_e32 v7, s56, v7                                  // 0000000113EC: 680E0E38
	v_add_u32_e32 v8, s56, v8                                  // 0000000113F0: 68101038
	s_waitcnt lgkmcnt(4)                                       // 0000000113F4: BF8CC47F
	buffer_store_dwordx4 v[40:43], v7, s[8:11], 0 offen        // 0000000113F8: E07C1000 80022807
	s_waitcnt lgkmcnt(0)                                       // 000000011400: BF8CC07F
	buffer_store_dwordx4 v[44:47], v8, s[8:11], 0 offen        // 000000011404: E07C1000 80022C08
	v_add_u32_e32 v7, s56, v7                                  // 00000001140C: 680E0E38
	v_add_u32_e32 v8, s56, v8                                  // 000000011410: 68101038
	v_and_b32_e32 v28, 1, v0                                   // 000000011414: 26380081
	v_lshlrev_b32_e32 v28, 5, v28                              // 000000011418: 24383885
	v_and_b32_e32 v29, 3, v0                                   // 00000001141C: 263A0083
	v_lshrrev_b32_e32 v29, 1, v29                              // 000000011420: 203A3A81
	v_lshlrev_b32_e32 v29, 4, v29                              // 000000011424: 243A3A84
	v_add_u32_e32 v28, v28, v29                                // 000000011428: 68383B1C
	v_lshrrev_b32_e32 v29, 2, v0                               // 00000001142C: 203A0082
	v_add_u32_e32 v28, v28, v29                                // 000000011430: 68383B1C
	v_lshlrev_b32_e32 v28, 2, v28                              // 000000011434: 24383882
	v_lshlrev_b32_e32 v30, 4, v0                               // 000000011438: 243C0084
	v_accvgpr_read_b32 v64, a144                               // 00000001143C: D3D84040 18000190
	v_accvgpr_read_b32 v65, a145                               // 000000011444: D3D84041 18000191
	v_accvgpr_read_b32 v66, a146                               // 00000001144C: D3D84042 18000192
	v_accvgpr_read_b32 v67, a147                               // 000000011454: D3D84043 18000193
	v_accvgpr_read_b32 v68, a148                               // 00000001145C: D3D84044 18000194
	v_accvgpr_read_b32 v69, a149                               // 000000011464: D3D84045 18000195
	v_accvgpr_read_b32 v70, a150                               // 00000001146C: D3D84046 18000196
	v_accvgpr_read_b32 v71, a151                               // 000000011474: D3D84047 18000197
	v_accvgpr_read_b32 v72, a152                               // 00000001147C: D3D84048 18000198
	v_accvgpr_read_b32 v73, a153                               // 000000011484: D3D84049 18000199
	v_accvgpr_read_b32 v74, a154                               // 00000001148C: D3D8404A 1800019A
	v_accvgpr_read_b32 v75, a155                               // 000000011494: D3D8404B 1800019B
	v_accvgpr_read_b32 v76, a156                               // 00000001149C: D3D8404C 1800019C
	v_accvgpr_read_b32 v77, a157                               // 0000000114A4: D3D8404D 1800019D
	v_accvgpr_read_b32 v78, a158                               // 0000000114AC: D3D8404E 1800019E
	v_accvgpr_read_b32 v79, a159                               // 0000000114B4: D3D8404F 1800019F
	v_permlane16_swap_b32_e32 v64, v68                         // 0000000114BC: 7E80B344
	v_permlane16_swap_b32_e32 v65, v69                         // 0000000114C0: 7E82B345
	v_permlane16_swap_b32_e32 v66, v70                         // 0000000114C4: 7E84B346
	v_permlane16_swap_b32_e32 v67, v71                         // 0000000114C8: 7E86B347
	ds_bpermute_b32 v32, v28, v64                              // 0000000114CC: D87E0000 2000401C
	ds_bpermute_b32 v33, v28, v65                              // 0000000114D4: D87E0000 2100411C
	ds_bpermute_b32 v34, v28, v66                              // 0000000114DC: D87E0000 2200421C
	ds_bpermute_b32 v35, v28, v67                              // 0000000114E4: D87E0000 2300431C
	ds_bpermute_b32 v36, v28, v68                              // 0000000114EC: D87E0000 2400441C
	ds_bpermute_b32 v37, v28, v69                              // 0000000114F4: D87E0000 2500451C
	ds_bpermute_b32 v38, v28, v70                              // 0000000114FC: D87E0000 2600461C
	ds_bpermute_b32 v39, v28, v71                              // 000000011504: D87E0000 2700471C
	v_permlane16_swap_b32_e32 v72, v76                         // 00000001150C: 7E90B34C
	v_permlane16_swap_b32_e32 v73, v77                         // 000000011510: 7E92B34D
	v_permlane16_swap_b32_e32 v74, v78                         // 000000011514: 7E94B34E
	v_permlane16_swap_b32_e32 v75, v79                         // 000000011518: 7E96B34F
	ds_bpermute_b32 v40, v28, v72                              // 00000001151C: D87E0000 2800481C
	ds_bpermute_b32 v41, v28, v73                              // 000000011524: D87E0000 2900491C
	ds_bpermute_b32 v42, v28, v74                              // 00000001152C: D87E0000 2A004A1C
	ds_bpermute_b32 v43, v28, v75                              // 000000011534: D87E0000 2B004B1C
	ds_bpermute_b32 v44, v28, v76                              // 00000001153C: D87E0000 2C004C1C
	ds_bpermute_b32 v45, v28, v77                              // 000000011544: D87E0000 2D004D1C
	ds_bpermute_b32 v46, v28, v78                              // 00000001154C: D87E0000 2E004E1C
	ds_bpermute_b32 v47, v28, v79                              // 000000011554: D87E0000 2F004F1C
	s_waitcnt lgkmcnt(12)                                      // 00000001155C: BF8CCC7F
	buffer_store_dwordx4 v[32:35], v7, s[8:11], 0 offen        // 000000011560: E07C1000 80022007
	s_waitcnt lgkmcnt(8)                                       // 000000011568: BF8CC87F
	buffer_store_dwordx4 v[36:39], v8, s[8:11], 0 offen        // 00000001156C: E07C1000 80022408
	s_mov_b32 s56, 64                                          // 000000011574: BEB800C0
	v_add_u32_e32 v7, s56, v7                                  // 000000011578: 680E0E38
	v_add_u32_e32 v8, s56, v8                                  // 00000001157C: 68101038
	s_waitcnt lgkmcnt(4)                                       // 000000011580: BF8CC47F
	buffer_store_dwordx4 v[40:43], v7, s[8:11], 0 offen        // 000000011584: E07C1000 80022807
	s_waitcnt lgkmcnt(0)                                       // 00000001158C: BF8CC07F
	buffer_store_dwordx4 v[44:47], v8, s[8:11], 0 offen        // 000000011590: E07C1000 80022C08
	v_add_u32_e32 v7, s56, v7                                  // 000000011598: 680E0E38
	v_add_u32_e32 v8, s56, v8                                  // 00000001159C: 68101038
	v_accvgpr_read_b32 v64, a160                               // 0000000115A0: D3D84040 180001A0
	v_accvgpr_read_b32 v65, a161                               // 0000000115A8: D3D84041 180001A1
	v_accvgpr_read_b32 v66, a162                               // 0000000115B0: D3D84042 180001A2
	v_accvgpr_read_b32 v67, a163                               // 0000000115B8: D3D84043 180001A3
	v_accvgpr_read_b32 v68, a164                               // 0000000115C0: D3D84044 180001A4
	v_accvgpr_read_b32 v69, a165                               // 0000000115C8: D3D84045 180001A5
	v_accvgpr_read_b32 v70, a166                               // 0000000115D0: D3D84046 180001A6
	v_accvgpr_read_b32 v71, a167                               // 0000000115D8: D3D84047 180001A7
	v_accvgpr_read_b32 v72, a168                               // 0000000115E0: D3D84048 180001A8
	v_accvgpr_read_b32 v73, a169                               // 0000000115E8: D3D84049 180001A9
	v_accvgpr_read_b32 v74, a170                               // 0000000115F0: D3D8404A 180001AA
	v_accvgpr_read_b32 v75, a171                               // 0000000115F8: D3D8404B 180001AB
	v_accvgpr_read_b32 v76, a172                               // 000000011600: D3D8404C 180001AC
	v_accvgpr_read_b32 v77, a173                               // 000000011608: D3D8404D 180001AD
	v_accvgpr_read_b32 v78, a174                               // 000000011610: D3D8404E 180001AE
	v_accvgpr_read_b32 v79, a175                               // 000000011618: D3D8404F 180001AF
	v_permlane16_swap_b32_e32 v64, v68                         // 000000011620: 7E80B344
	v_permlane16_swap_b32_e32 v65, v69                         // 000000011624: 7E82B345
	v_permlane16_swap_b32_e32 v66, v70                         // 000000011628: 7E84B346
	v_permlane16_swap_b32_e32 v67, v71                         // 00000001162C: 7E86B347
	ds_bpermute_b32 v32, v28, v64                              // 000000011630: D87E0000 2000401C
	ds_bpermute_b32 v33, v28, v65                              // 000000011638: D87E0000 2100411C
	ds_bpermute_b32 v34, v28, v66                              // 000000011640: D87E0000 2200421C
	ds_bpermute_b32 v35, v28, v67                              // 000000011648: D87E0000 2300431C
	ds_bpermute_b32 v36, v28, v68                              // 000000011650: D87E0000 2400441C
	ds_bpermute_b32 v37, v28, v69                              // 000000011658: D87E0000 2500451C
	ds_bpermute_b32 v38, v28, v70                              // 000000011660: D87E0000 2600461C
	ds_bpermute_b32 v39, v28, v71                              // 000000011668: D87E0000 2700471C
	v_permlane16_swap_b32_e32 v72, v76                         // 000000011670: 7E90B34C
	v_permlane16_swap_b32_e32 v73, v77                         // 000000011674: 7E92B34D
	v_permlane16_swap_b32_e32 v74, v78                         // 000000011678: 7E94B34E
	v_permlane16_swap_b32_e32 v75, v79                         // 00000001167C: 7E96B34F
	ds_bpermute_b32 v40, v28, v72                              // 000000011680: D87E0000 2800481C
	ds_bpermute_b32 v41, v28, v73                              // 000000011688: D87E0000 2900491C
	ds_bpermute_b32 v42, v28, v74                              // 000000011690: D87E0000 2A004A1C
	ds_bpermute_b32 v43, v28, v75                              // 000000011698: D87E0000 2B004B1C
	ds_bpermute_b32 v44, v28, v76                              // 0000000116A0: D87E0000 2C004C1C
	ds_bpermute_b32 v45, v28, v77                              // 0000000116A8: D87E0000 2D004D1C
	ds_bpermute_b32 v46, v28, v78                              // 0000000116B0: D87E0000 2E004E1C
	ds_bpermute_b32 v47, v28, v79                              // 0000000116B8: D87E0000 2F004F1C
	s_waitcnt lgkmcnt(12)                                      // 0000000116C0: BF8CCC7F
	buffer_store_dwordx4 v[32:35], v7, s[8:11], 0 offen        // 0000000116C4: E07C1000 80022007
	s_waitcnt lgkmcnt(8)                                       // 0000000116CC: BF8CC87F
	buffer_store_dwordx4 v[36:39], v8, s[8:11], 0 offen        // 0000000116D0: E07C1000 80022408
	s_mov_b32 s56, 64                                          // 0000000116D8: BEB800C0
	v_add_u32_e32 v7, s56, v7                                  // 0000000116DC: 680E0E38
	v_add_u32_e32 v8, s56, v8                                  // 0000000116E0: 68101038
	s_waitcnt lgkmcnt(4)                                       // 0000000116E4: BF8CC47F
	buffer_store_dwordx4 v[40:43], v7, s[8:11], 0 offen        // 0000000116E8: E07C1000 80022807
	s_waitcnt lgkmcnt(0)                                       // 0000000116F0: BF8CC07F
	buffer_store_dwordx4 v[44:47], v8, s[8:11], 0 offen        // 0000000116F4: E07C1000 80022C08
	v_add_u32_e32 v7, s56, v7                                  // 0000000116FC: 680E0E38
	v_add_u32_e32 v8, s56, v8                                  // 000000011700: 68101038
	v_accvgpr_read_b32 v64, a176                               // 000000011704: D3D84040 180001B0
	v_accvgpr_read_b32 v65, a177                               // 00000001170C: D3D84041 180001B1
	v_accvgpr_read_b32 v66, a178                               // 000000011714: D3D84042 180001B2
	v_accvgpr_read_b32 v67, a179                               // 00000001171C: D3D84043 180001B3
	v_accvgpr_read_b32 v68, a180                               // 000000011724: D3D84044 180001B4
	v_accvgpr_read_b32 v69, a181                               // 00000001172C: D3D84045 180001B5
	v_accvgpr_read_b32 v70, a182                               // 000000011734: D3D84046 180001B6
	v_accvgpr_read_b32 v71, a183                               // 00000001173C: D3D84047 180001B7
	v_accvgpr_read_b32 v72, a184                               // 000000011744: D3D84048 180001B8
	v_accvgpr_read_b32 v73, a185                               // 00000001174C: D3D84049 180001B9
	v_accvgpr_read_b32 v74, a186                               // 000000011754: D3D8404A 180001BA
	v_accvgpr_read_b32 v75, a187                               // 00000001175C: D3D8404B 180001BB
	v_accvgpr_read_b32 v76, a188                               // 000000011764: D3D8404C 180001BC
	v_accvgpr_read_b32 v77, a189                               // 00000001176C: D3D8404D 180001BD
	v_accvgpr_read_b32 v78, a190                               // 000000011774: D3D8404E 180001BE
	v_accvgpr_read_b32 v79, a191                               // 00000001177C: D3D8404F 180001BF
	v_permlane16_swap_b32_e32 v64, v68                         // 000000011784: 7E80B344
	v_permlane16_swap_b32_e32 v65, v69                         // 000000011788: 7E82B345
	v_permlane16_swap_b32_e32 v66, v70                         // 00000001178C: 7E84B346
	v_permlane16_swap_b32_e32 v67, v71                         // 000000011790: 7E86B347
	ds_bpermute_b32 v32, v28, v64                              // 000000011794: D87E0000 2000401C
	ds_bpermute_b32 v33, v28, v65                              // 00000001179C: D87E0000 2100411C
	ds_bpermute_b32 v34, v28, v66                              // 0000000117A4: D87E0000 2200421C
	ds_bpermute_b32 v35, v28, v67                              // 0000000117AC: D87E0000 2300431C
	ds_bpermute_b32 v36, v28, v68                              // 0000000117B4: D87E0000 2400441C
	ds_bpermute_b32 v37, v28, v69                              // 0000000117BC: D87E0000 2500451C
	ds_bpermute_b32 v38, v28, v70                              // 0000000117C4: D87E0000 2600461C
	ds_bpermute_b32 v39, v28, v71                              // 0000000117CC: D87E0000 2700471C
	v_permlane16_swap_b32_e32 v72, v76                         // 0000000117D4: 7E90B34C
	v_permlane16_swap_b32_e32 v73, v77                         // 0000000117D8: 7E92B34D
	v_permlane16_swap_b32_e32 v74, v78                         // 0000000117DC: 7E94B34E
	v_permlane16_swap_b32_e32 v75, v79                         // 0000000117E0: 7E96B34F
	ds_bpermute_b32 v40, v28, v72                              // 0000000117E4: D87E0000 2800481C
	ds_bpermute_b32 v41, v28, v73                              // 0000000117EC: D87E0000 2900491C
	ds_bpermute_b32 v42, v28, v74                              // 0000000117F4: D87E0000 2A004A1C
	ds_bpermute_b32 v43, v28, v75                              // 0000000117FC: D87E0000 2B004B1C
	ds_bpermute_b32 v44, v28, v76                              // 000000011804: D87E0000 2C004C1C
	ds_bpermute_b32 v45, v28, v77                              // 00000001180C: D87E0000 2D004D1C
	ds_bpermute_b32 v46, v28, v78                              // 000000011814: D87E0000 2E004E1C
	ds_bpermute_b32 v47, v28, v79                              // 00000001181C: D87E0000 2F004F1C
	s_waitcnt lgkmcnt(12)                                      // 000000011824: BF8CCC7F
	buffer_store_dwordx4 v[32:35], v7, s[8:11], 0 offen        // 000000011828: E07C1000 80022007
	s_waitcnt lgkmcnt(8)                                       // 000000011830: BF8CC87F
	buffer_store_dwordx4 v[36:39], v8, s[8:11], 0 offen        // 000000011834: E07C1000 80022408
	s_mov_b32 s56, 64                                          // 00000001183C: BEB800C0
	v_add_u32_e32 v7, s56, v7                                  // 000000011840: 680E0E38
	v_add_u32_e32 v8, s56, v8                                  // 000000011844: 68101038
	s_waitcnt lgkmcnt(4)                                       // 000000011848: BF8CC47F
	buffer_store_dwordx4 v[40:43], v7, s[8:11], 0 offen        // 00000001184C: E07C1000 80022807
	s_waitcnt lgkmcnt(0)                                       // 000000011854: BF8CC07F
	buffer_store_dwordx4 v[44:47], v8, s[8:11], 0 offen        // 000000011858: E07C1000 80022C08
	v_add_u32_e32 v7, s56, v7                                  // 000000011860: 680E0E38
	v_add_u32_e32 v8, s56, v8                                  // 000000011864: 68101038
	v_accvgpr_read_b32 v64, a192                               // 000000011868: D3D84040 180001C0
	v_accvgpr_read_b32 v65, a193                               // 000000011870: D3D84041 180001C1
	v_accvgpr_read_b32 v66, a194                               // 000000011878: D3D84042 180001C2
	v_accvgpr_read_b32 v67, a195                               // 000000011880: D3D84043 180001C3
	v_accvgpr_read_b32 v68, a196                               // 000000011888: D3D84044 180001C4
	v_accvgpr_read_b32 v69, a197                               // 000000011890: D3D84045 180001C5
	v_accvgpr_read_b32 v70, a198                               // 000000011898: D3D84046 180001C6
	v_accvgpr_read_b32 v71, a199                               // 0000000118A0: D3D84047 180001C7
	v_accvgpr_read_b32 v72, a200                               // 0000000118A8: D3D84048 180001C8
	v_accvgpr_read_b32 v73, a201                               // 0000000118B0: D3D84049 180001C9
	v_accvgpr_read_b32 v74, a202                               // 0000000118B8: D3D8404A 180001CA
	v_accvgpr_read_b32 v75, a203                               // 0000000118C0: D3D8404B 180001CB
	v_accvgpr_read_b32 v76, a204                               // 0000000118C8: D3D8404C 180001CC
	v_accvgpr_read_b32 v77, a205                               // 0000000118D0: D3D8404D 180001CD
	v_accvgpr_read_b32 v78, a206                               // 0000000118D8: D3D8404E 180001CE
	v_accvgpr_read_b32 v79, a207                               // 0000000118E0: D3D8404F 180001CF
	v_permlane16_swap_b32_e32 v64, v68                         // 0000000118E8: 7E80B344
	v_permlane16_swap_b32_e32 v65, v69                         // 0000000118EC: 7E82B345
	v_permlane16_swap_b32_e32 v66, v70                         // 0000000118F0: 7E84B346
	v_permlane16_swap_b32_e32 v67, v71                         // 0000000118F4: 7E86B347
	ds_bpermute_b32 v32, v28, v64                              // 0000000118F8: D87E0000 2000401C
	ds_bpermute_b32 v33, v28, v65                              // 000000011900: D87E0000 2100411C
	ds_bpermute_b32 v34, v28, v66                              // 000000011908: D87E0000 2200421C
	ds_bpermute_b32 v35, v28, v67                              // 000000011910: D87E0000 2300431C
	ds_bpermute_b32 v36, v28, v68                              // 000000011918: D87E0000 2400441C
	ds_bpermute_b32 v37, v28, v69                              // 000000011920: D87E0000 2500451C
	ds_bpermute_b32 v38, v28, v70                              // 000000011928: D87E0000 2600461C
	ds_bpermute_b32 v39, v28, v71                              // 000000011930: D87E0000 2700471C
	v_permlane16_swap_b32_e32 v72, v76                         // 000000011938: 7E90B34C
	v_permlane16_swap_b32_e32 v73, v77                         // 00000001193C: 7E92B34D
	v_permlane16_swap_b32_e32 v74, v78                         // 000000011940: 7E94B34E
	v_permlane16_swap_b32_e32 v75, v79                         // 000000011944: 7E96B34F
	ds_bpermute_b32 v40, v28, v72                              // 000000011948: D87E0000 2800481C
	ds_bpermute_b32 v41, v28, v73                              // 000000011950: D87E0000 2900491C
	ds_bpermute_b32 v42, v28, v74                              // 000000011958: D87E0000 2A004A1C
	ds_bpermute_b32 v43, v28, v75                              // 000000011960: D87E0000 2B004B1C
	ds_bpermute_b32 v44, v28, v76                              // 000000011968: D87E0000 2C004C1C
	ds_bpermute_b32 v45, v28, v77                              // 000000011970: D87E0000 2D004D1C
	ds_bpermute_b32 v46, v28, v78                              // 000000011978: D87E0000 2E004E1C
	ds_bpermute_b32 v47, v28, v79                              // 000000011980: D87E0000 2F004F1C
	s_waitcnt lgkmcnt(12)                                      // 000000011988: BF8CCC7F
	buffer_store_dwordx4 v[32:35], v7, s[8:11], 0 offen        // 00000001198C: E07C1000 80022007
	s_waitcnt lgkmcnt(8)                                       // 000000011994: BF8CC87F
	buffer_store_dwordx4 v[36:39], v8, s[8:11], 0 offen        // 000000011998: E07C1000 80022408
	s_mov_b32 s56, 64                                          // 0000000119A0: BEB800C0
	v_add_u32_e32 v7, s56, v7                                  // 0000000119A4: 680E0E38
	v_add_u32_e32 v8, s56, v8                                  // 0000000119A8: 68101038
	s_waitcnt lgkmcnt(4)                                       // 0000000119AC: BF8CC47F
	buffer_store_dwordx4 v[40:43], v7, s[8:11], 0 offen        // 0000000119B0: E07C1000 80022807
	s_waitcnt lgkmcnt(0)                                       // 0000000119B8: BF8CC07F
	buffer_store_dwordx4 v[44:47], v8, s[8:11], 0 offen        // 0000000119BC: E07C1000 80022C08
	v_add_u32_e32 v7, s56, v7                                  // 0000000119C4: 680E0E38
	v_add_u32_e32 v8, s56, v8                                  // 0000000119C8: 68101038
	v_accvgpr_read_b32 v64, a208                               // 0000000119CC: D3D84040 180001D0
	v_accvgpr_read_b32 v65, a209                               // 0000000119D4: D3D84041 180001D1
	v_accvgpr_read_b32 v66, a210                               // 0000000119DC: D3D84042 180001D2
	v_accvgpr_read_b32 v67, a211                               // 0000000119E4: D3D84043 180001D3
	v_accvgpr_read_b32 v68, a212                               // 0000000119EC: D3D84044 180001D4
	v_accvgpr_read_b32 v69, a213                               // 0000000119F4: D3D84045 180001D5
	v_accvgpr_read_b32 v70, a214                               // 0000000119FC: D3D84046 180001D6
	v_accvgpr_read_b32 v71, a215                               // 000000011A04: D3D84047 180001D7
	v_accvgpr_read_b32 v72, a216                               // 000000011A0C: D3D84048 180001D8
	v_accvgpr_read_b32 v73, a217                               // 000000011A14: D3D84049 180001D9
	v_accvgpr_read_b32 v74, a218                               // 000000011A1C: D3D8404A 180001DA
	v_accvgpr_read_b32 v75, a219                               // 000000011A24: D3D8404B 180001DB
	v_accvgpr_read_b32 v76, a220                               // 000000011A2C: D3D8404C 180001DC
	v_accvgpr_read_b32 v77, a221                               // 000000011A34: D3D8404D 180001DD
	v_accvgpr_read_b32 v78, a222                               // 000000011A3C: D3D8404E 180001DE
	v_accvgpr_read_b32 v79, a223                               // 000000011A44: D3D8404F 180001DF
	v_permlane16_swap_b32_e32 v64, v68                         // 000000011A4C: 7E80B344
	v_permlane16_swap_b32_e32 v65, v69                         // 000000011A50: 7E82B345
	v_permlane16_swap_b32_e32 v66, v70                         // 000000011A54: 7E84B346
	v_permlane16_swap_b32_e32 v67, v71                         // 000000011A58: 7E86B347
	ds_bpermute_b32 v32, v28, v64                              // 000000011A5C: D87E0000 2000401C
	ds_bpermute_b32 v33, v28, v65                              // 000000011A64: D87E0000 2100411C
	ds_bpermute_b32 v34, v28, v66                              // 000000011A6C: D87E0000 2200421C
	ds_bpermute_b32 v35, v28, v67                              // 000000011A74: D87E0000 2300431C
	ds_bpermute_b32 v36, v28, v68                              // 000000011A7C: D87E0000 2400441C
	ds_bpermute_b32 v37, v28, v69                              // 000000011A84: D87E0000 2500451C
	ds_bpermute_b32 v38, v28, v70                              // 000000011A8C: D87E0000 2600461C
	ds_bpermute_b32 v39, v28, v71                              // 000000011A94: D87E0000 2700471C
	v_permlane16_swap_b32_e32 v72, v76                         // 000000011A9C: 7E90B34C
	v_permlane16_swap_b32_e32 v73, v77                         // 000000011AA0: 7E92B34D
	v_permlane16_swap_b32_e32 v74, v78                         // 000000011AA4: 7E94B34E
	v_permlane16_swap_b32_e32 v75, v79                         // 000000011AA8: 7E96B34F
	ds_bpermute_b32 v40, v28, v72                              // 000000011AAC: D87E0000 2800481C
	ds_bpermute_b32 v41, v28, v73                              // 000000011AB4: D87E0000 2900491C
	ds_bpermute_b32 v42, v28, v74                              // 000000011ABC: D87E0000 2A004A1C
	ds_bpermute_b32 v43, v28, v75                              // 000000011AC4: D87E0000 2B004B1C
	ds_bpermute_b32 v44, v28, v76                              // 000000011ACC: D87E0000 2C004C1C
	ds_bpermute_b32 v45, v28, v77                              // 000000011AD4: D87E0000 2D004D1C
	ds_bpermute_b32 v46, v28, v78                              // 000000011ADC: D87E0000 2E004E1C
	ds_bpermute_b32 v47, v28, v79                              // 000000011AE4: D87E0000 2F004F1C
	s_waitcnt lgkmcnt(12)                                      // 000000011AEC: BF8CCC7F
	buffer_store_dwordx4 v[32:35], v7, s[8:11], 0 offen        // 000000011AF0: E07C1000 80022007
	s_waitcnt lgkmcnt(8)                                       // 000000011AF8: BF8CC87F
	buffer_store_dwordx4 v[36:39], v8, s[8:11], 0 offen        // 000000011AFC: E07C1000 80022408
	s_mov_b32 s56, 64                                          // 000000011B04: BEB800C0
	v_add_u32_e32 v7, s56, v7                                  // 000000011B08: 680E0E38
	v_add_u32_e32 v8, s56, v8                                  // 000000011B0C: 68101038
	s_waitcnt lgkmcnt(4)                                       // 000000011B10: BF8CC47F
	buffer_store_dwordx4 v[40:43], v7, s[8:11], 0 offen        // 000000011B14: E07C1000 80022807
	s_waitcnt lgkmcnt(0)                                       // 000000011B1C: BF8CC07F
	buffer_store_dwordx4 v[44:47], v8, s[8:11], 0 offen        // 000000011B20: E07C1000 80022C08
	v_add_u32_e32 v7, s56, v7                                  // 000000011B28: 680E0E38
	v_add_u32_e32 v8, s56, v8                                  // 000000011B2C: 68101038
	v_accvgpr_read_b32 v64, a224                               // 000000011B30: D3D84040 180001E0
	v_accvgpr_read_b32 v65, a225                               // 000000011B38: D3D84041 180001E1
	v_accvgpr_read_b32 v66, a226                               // 000000011B40: D3D84042 180001E2
	v_accvgpr_read_b32 v67, a227                               // 000000011B48: D3D84043 180001E3
	v_accvgpr_read_b32 v68, a228                               // 000000011B50: D3D84044 180001E4
	v_accvgpr_read_b32 v69, a229                               // 000000011B58: D3D84045 180001E5
	v_accvgpr_read_b32 v70, a230                               // 000000011B60: D3D84046 180001E6
	v_accvgpr_read_b32 v71, a231                               // 000000011B68: D3D84047 180001E7
	v_accvgpr_read_b32 v72, a232                               // 000000011B70: D3D84048 180001E8
	v_accvgpr_read_b32 v73, a233                               // 000000011B78: D3D84049 180001E9
	v_accvgpr_read_b32 v74, a234                               // 000000011B80: D3D8404A 180001EA
	v_accvgpr_read_b32 v75, a235                               // 000000011B88: D3D8404B 180001EB
	v_accvgpr_read_b32 v76, a236                               // 000000011B90: D3D8404C 180001EC
	v_accvgpr_read_b32 v77, a237                               // 000000011B98: D3D8404D 180001ED
	v_accvgpr_read_b32 v78, a238                               // 000000011BA0: D3D8404E 180001EE
	v_accvgpr_read_b32 v79, a239                               // 000000011BA8: D3D8404F 180001EF
	v_permlane16_swap_b32_e32 v64, v68                         // 000000011BB0: 7E80B344
	v_permlane16_swap_b32_e32 v65, v69                         // 000000011BB4: 7E82B345
	v_permlane16_swap_b32_e32 v66, v70                         // 000000011BB8: 7E84B346
	v_permlane16_swap_b32_e32 v67, v71                         // 000000011BBC: 7E86B347
	ds_bpermute_b32 v32, v28, v64                              // 000000011BC0: D87E0000 2000401C
	ds_bpermute_b32 v33, v28, v65                              // 000000011BC8: D87E0000 2100411C
	ds_bpermute_b32 v34, v28, v66                              // 000000011BD0: D87E0000 2200421C
	ds_bpermute_b32 v35, v28, v67                              // 000000011BD8: D87E0000 2300431C
	ds_bpermute_b32 v36, v28, v68                              // 000000011BE0: D87E0000 2400441C
	ds_bpermute_b32 v37, v28, v69                              // 000000011BE8: D87E0000 2500451C
	ds_bpermute_b32 v38, v28, v70                              // 000000011BF0: D87E0000 2600461C
	ds_bpermute_b32 v39, v28, v71                              // 000000011BF8: D87E0000 2700471C
	v_permlane16_swap_b32_e32 v72, v76                         // 000000011C00: 7E90B34C
	v_permlane16_swap_b32_e32 v73, v77                         // 000000011C04: 7E92B34D
	v_permlane16_swap_b32_e32 v74, v78                         // 000000011C08: 7E94B34E
	v_permlane16_swap_b32_e32 v75, v79                         // 000000011C0C: 7E96B34F
	ds_bpermute_b32 v40, v28, v72                              // 000000011C10: D87E0000 2800481C
	ds_bpermute_b32 v41, v28, v73                              // 000000011C18: D87E0000 2900491C
	ds_bpermute_b32 v42, v28, v74                              // 000000011C20: D87E0000 2A004A1C
	ds_bpermute_b32 v43, v28, v75                              // 000000011C28: D87E0000 2B004B1C
	ds_bpermute_b32 v44, v28, v76                              // 000000011C30: D87E0000 2C004C1C
	ds_bpermute_b32 v45, v28, v77                              // 000000011C38: D87E0000 2D004D1C
	ds_bpermute_b32 v46, v28, v78                              // 000000011C40: D87E0000 2E004E1C
	ds_bpermute_b32 v47, v28, v79                              // 000000011C48: D87E0000 2F004F1C
	s_waitcnt lgkmcnt(12)                                      // 000000011C50: BF8CCC7F
	buffer_store_dwordx4 v[32:35], v7, s[8:11], 0 offen        // 000000011C54: E07C1000 80022007
	s_waitcnt lgkmcnt(8)                                       // 000000011C5C: BF8CC87F
	buffer_store_dwordx4 v[36:39], v8, s[8:11], 0 offen        // 000000011C60: E07C1000 80022408
	s_mov_b32 s56, 64                                          // 000000011C68: BEB800C0
	v_add_u32_e32 v7, s56, v7                                  // 000000011C6C: 680E0E38
	v_add_u32_e32 v8, s56, v8                                  // 000000011C70: 68101038
	s_waitcnt lgkmcnt(4)                                       // 000000011C74: BF8CC47F
	buffer_store_dwordx4 v[40:43], v7, s[8:11], 0 offen        // 000000011C78: E07C1000 80022807
	s_waitcnt lgkmcnt(0)                                       // 000000011C80: BF8CC07F
	buffer_store_dwordx4 v[44:47], v8, s[8:11], 0 offen        // 000000011C84: E07C1000 80022C08
	v_add_u32_e32 v7, s56, v7                                  // 000000011C8C: 680E0E38
	v_add_u32_e32 v8, s56, v8                                  // 000000011C90: 68101038
	buffer_store_dword v5, v9, s[12:15], 0 offen               // 000000011C94: E0701000 80030509
	s_branch label_10B00                                       // 000000011C9C: BF820416

0000000000011ca0 <label_FAA8>:
	s_mul_i32 s75, 0x400, s90                                  // 000000011CA0: 924B5AFF 00000400
	s_mul_i32 s56, s78, s75                                    // 000000011CA8: 92384B4E
	s_add_u32 s88, s56, s88                                    // 000000011CAC: 80585838
	s_addc_u32 s89, 0, s89                                     // 000000011CB0: 82595980
	s_mul_i32 s57, 4, s90                                      // 000000011CB4: 92395A84
	s_mul_i32 s56, s78, s57                                    // 000000011CB8: 9238394E
	s_add_u32 s92, s56, s92                                    // 000000011CBC: 805C5C38
	s_addc_u32 s93, 0, s93                                     // 000000011CC0: 825D5D80
	s_mul_i32 s56, s81, s57                                    // 000000011CC4: 92383951
	s_mov_b32 s94, s56                                         // 000000011CC8: BEDE0038
	v_and_b32_e32 v9, 31, v0                                   // 000000011CCC: 2612009F
	v_lshlrev_b32_e32 v9, 2, v9                                // 000000011CD0: 24121282
	s_mul_i32 s56, s7, 0x80                                    // 000000011CD4: 9238FF07 00000080
	v_add_u32_e64 v9, v9, s56                                  // 000000011CDC: D1340009 00007109
	s_mul_i32 s56, s75, s81                                    // 000000011CE4: 9238514B
	s_mov_b32 s90, s56                                         // 000000011CE8: BEDA0038
	s_mul_i32 s56, s7, 0x8000                                  // 000000011CEC: 9238FF07 00008000
	v_lshrrev_b32_e32 v7, 2, v0                                // 000000011CF4: 200E0082
	s_mov_b32 s57, 0x400                                       // 000000011CF8: BEB900FF 00000400
	v_mul_i32_i24_e32 v7, s57, v7                              // 000000011D00: 0C0E0E39
	v_and_b32_e32 v28, 3, v0                                   // 000000011D04: 26380083
	v_lshlrev_b32_e32 v28, 4, v28                              // 000000011D08: 24383884
	v_add_u32_e32 v7, v28, v7                                  // 000000011D0C: 680E0F1C
	v_add_u32_e32 v7, s56, v7                                  // 000000011D10: 680E0E38
	s_mov_b32 s57, 0x4000                                      // 000000011D14: BEB900FF 00004000
	v_add_u32_e32 v8, s57, v7                                  // 000000011D1C: 68100E39
	v_and_b32_e32 v28, 1, v0                                   // 000000011D20: 26380081
	v_lshlrev_b32_e32 v28, 5, v28                              // 000000011D24: 24383885
	v_and_b32_e32 v29, 3, v0                                   // 000000011D28: 263A0083
	v_lshrrev_b32_e32 v29, 1, v29                              // 000000011D2C: 203A3A81
	v_lshlrev_b32_e32 v29, 4, v29                              // 000000011D30: 243A3A84
	v_add_u32_e32 v28, v28, v29                                // 000000011D34: 68383B1C
	v_lshrrev_b32_e32 v29, 2, v0                               // 000000011D38: 203A0082
	v_add_u32_e32 v28, v28, v29                                // 000000011D3C: 68383B1C
	v_lshlrev_b32_e32 v28, 2, v28                              // 000000011D40: 24383882
	v_lshlrev_b32_e32 v30, 4, v0                               // 000000011D44: 243C0084
	v_cvt_pk_bf16_f32 v64, v64, v65                            // 000000011D48: D2680040 00028340
	v_cvt_pk_bf16_f32 v65, v66, v67                            // 000000011D50: D2680041 00028742
	v_cvt_pk_bf16_f32 v66, v68, v69                            // 000000011D58: D2680042 00028B44
	v_cvt_pk_bf16_f32 v67, v70, v71                            // 000000011D60: D2680043 00028F46
	v_cvt_pk_bf16_f32 v68, v72, v73                            // 000000011D68: D2680044 00029348
	v_cvt_pk_bf16_f32 v69, v74, v75                            // 000000011D70: D2680045 0002974A
	v_cvt_pk_bf16_f32 v70, v76, v77                            // 000000011D78: D2680046 00029B4C
	v_cvt_pk_bf16_f32 v71, v78, v79                            // 000000011D80: D2680047 00029F4E
	v_permlane32_swap_b32_e32 v64, v66                         // 000000011D88: 7E80B542
	v_permlane32_swap_b32_e32 v65, v67                         // 000000011D8C: 7E82B543
	v_permlane32_swap_b32_e32 v68, v70                         // 000000011D90: 7E88B546
	v_permlane32_swap_b32_e32 v69, v71                         // 000000011D94: 7E8AB547
	s_nop 1                                                    // 000000011D98: BF800001
	v_permlane16_swap_b32_e32 v64, v68                         // 000000011D9C: 7E80B344
	v_permlane16_swap_b32_e32 v65, v69                         // 000000011DA0: 7E82B345
	v_permlane16_swap_b32_e32 v66, v70                         // 000000011DA4: 7E84B346
	v_permlane16_swap_b32_e32 v67, v71                         // 000000011DA8: 7E86B347
	ds_bpermute_b32 v32, v28, v64                              // 000000011DAC: D87E0000 2000401C
	ds_bpermute_b32 v33, v28, v65                              // 000000011DB4: D87E0000 2100411C
	ds_bpermute_b32 v34, v28, v66                              // 000000011DBC: D87E0000 2200421C
	ds_bpermute_b32 v35, v28, v67                              // 000000011DC4: D87E0000 2300431C
	ds_bpermute_b32 v36, v28, v68                              // 000000011DCC: D87E0000 2400441C
	ds_bpermute_b32 v37, v28, v69                              // 000000011DD4: D87E0000 2500451C
	ds_bpermute_b32 v38, v28, v70                              // 000000011DDC: D87E0000 2600461C
	ds_bpermute_b32 v39, v28, v71                              // 000000011DE4: D87E0000 2700471C
	s_waitcnt lgkmcnt(4)                                       // 000000011DEC: BF8CC47F
	buffer_store_dwordx4 v[32:35], v7, s[88:91], 0 offen       // 000000011DF0: E07C1000 80162007
	s_mov_b32 s56, 64                                          // 000000011DF8: BEB800C0
	v_add_u32_e32 v7, s56, v7                                  // 000000011DFC: 680E0E38
	s_waitcnt lgkmcnt(0)                                       // 000000011E00: BF8CC07F
	buffer_store_dwordx4 v[36:39], v8, s[88:91], 0 offen       // 000000011E04: E07C1000 80162408
	v_add_u32_e32 v8, s56, v8                                  // 000000011E0C: 68101038
	v_cvt_pk_bf16_f32 v64, v80, v81                            // 000000011E10: D2680040 0002A350
	v_cvt_pk_bf16_f32 v65, v82, v83                            // 000000011E18: D2680041 0002A752
	v_cvt_pk_bf16_f32 v66, v84, v85                            // 000000011E20: D2680042 0002AB54
	v_cvt_pk_bf16_f32 v67, v86, v87                            // 000000011E28: D2680043 0002AF56
	v_cvt_pk_bf16_f32 v68, v88, v89                            // 000000011E30: D2680044 0002B358
	v_cvt_pk_bf16_f32 v69, v90, v91                            // 000000011E38: D2680045 0002B75A
	v_cvt_pk_bf16_f32 v70, v92, v93                            // 000000011E40: D2680046 0002BB5C
	v_cvt_pk_bf16_f32 v71, v94, v95                            // 000000011E48: D2680047 0002BF5E
	v_permlane32_swap_b32_e32 v64, v66                         // 000000011E50: 7E80B542
	v_permlane32_swap_b32_e32 v65, v67                         // 000000011E54: 7E82B543
	v_permlane32_swap_b32_e32 v68, v70                         // 000000011E58: 7E88B546
	v_permlane32_swap_b32_e32 v69, v71                         // 000000011E5C: 7E8AB547
	s_nop 1                                                    // 000000011E60: BF800001
	v_permlane16_swap_b32_e32 v64, v68                         // 000000011E64: 7E80B344
	v_permlane16_swap_b32_e32 v65, v69                         // 000000011E68: 7E82B345
	v_permlane16_swap_b32_e32 v66, v70                         // 000000011E6C: 7E84B346
	v_permlane16_swap_b32_e32 v67, v71                         // 000000011E70: 7E86B347
	ds_bpermute_b32 v32, v28, v64                              // 000000011E74: D87E0000 2000401C
	ds_bpermute_b32 v33, v28, v65                              // 000000011E7C: D87E0000 2100411C
	ds_bpermute_b32 v34, v28, v66                              // 000000011E84: D87E0000 2200421C
	ds_bpermute_b32 v35, v28, v67                              // 000000011E8C: D87E0000 2300431C
	ds_bpermute_b32 v36, v28, v68                              // 000000011E94: D87E0000 2400441C
	ds_bpermute_b32 v37, v28, v69                              // 000000011E9C: D87E0000 2500451C
	ds_bpermute_b32 v38, v28, v70                              // 000000011EA4: D87E0000 2600461C
	ds_bpermute_b32 v39, v28, v71                              // 000000011EAC: D87E0000 2700471C
	s_waitcnt lgkmcnt(4)                                       // 000000011EB4: BF8CC47F
	buffer_store_dwordx4 v[32:35], v7, s[88:91], 0 offen       // 000000011EB8: E07C1000 80162007
	s_mov_b32 s56, 64                                          // 000000011EC0: BEB800C0
	v_add_u32_e32 v7, s56, v7                                  // 000000011EC4: 680E0E38
	s_waitcnt lgkmcnt(0)                                       // 000000011EC8: BF8CC07F
	buffer_store_dwordx4 v[36:39], v8, s[88:91], 0 offen       // 000000011ECC: E07C1000 80162408
	v_add_u32_e32 v8, s56, v8                                  // 000000011ED4: 68101038
	v_cvt_pk_bf16_f32 v64, v96, v97                            // 000000011ED8: D2680040 0002C360
	v_cvt_pk_bf16_f32 v65, v98, v99                            // 000000011EE0: D2680041 0002C762
	v_cvt_pk_bf16_f32 v66, v100, v101                          // 000000011EE8: D2680042 0002CB64
	v_cvt_pk_bf16_f32 v67, v102, v103                          // 000000011EF0: D2680043 0002CF66
	v_cvt_pk_bf16_f32 v68, v104, v105                          // 000000011EF8: D2680044 0002D368
	v_cvt_pk_bf16_f32 v69, v106, v107                          // 000000011F00: D2680045 0002D76A
	v_cvt_pk_bf16_f32 v70, v108, v109                          // 000000011F08: D2680046 0002DB6C
	v_cvt_pk_bf16_f32 v71, v110, v111                          // 000000011F10: D2680047 0002DF6E
	v_permlane32_swap_b32_e32 v64, v66                         // 000000011F18: 7E80B542
	v_permlane32_swap_b32_e32 v65, v67                         // 000000011F1C: 7E82B543
	v_permlane32_swap_b32_e32 v68, v70                         // 000000011F20: 7E88B546
	v_permlane32_swap_b32_e32 v69, v71                         // 000000011F24: 7E8AB547
	s_nop 1                                                    // 000000011F28: BF800001
	v_permlane16_swap_b32_e32 v64, v68                         // 000000011F2C: 7E80B344
	v_permlane16_swap_b32_e32 v65, v69                         // 000000011F30: 7E82B345
	v_permlane16_swap_b32_e32 v66, v70                         // 000000011F34: 7E84B346
	v_permlane16_swap_b32_e32 v67, v71                         // 000000011F38: 7E86B347
	ds_bpermute_b32 v32, v28, v64                              // 000000011F3C: D87E0000 2000401C
	ds_bpermute_b32 v33, v28, v65                              // 000000011F44: D87E0000 2100411C
	ds_bpermute_b32 v34, v28, v66                              // 000000011F4C: D87E0000 2200421C
	ds_bpermute_b32 v35, v28, v67                              // 000000011F54: D87E0000 2300431C
	ds_bpermute_b32 v36, v28, v68                              // 000000011F5C: D87E0000 2400441C
	ds_bpermute_b32 v37, v28, v69                              // 000000011F64: D87E0000 2500451C
	ds_bpermute_b32 v38, v28, v70                              // 000000011F6C: D87E0000 2600461C
	ds_bpermute_b32 v39, v28, v71                              // 000000011F74: D87E0000 2700471C
	s_waitcnt lgkmcnt(4)                                       // 000000011F7C: BF8CC47F
	buffer_store_dwordx4 v[32:35], v7, s[88:91], 0 offen       // 000000011F80: E07C1000 80162007
	s_mov_b32 s56, 64                                          // 000000011F88: BEB800C0
	v_add_u32_e32 v7, s56, v7                                  // 000000011F8C: 680E0E38
	s_waitcnt lgkmcnt(0)                                       // 000000011F90: BF8CC07F
	buffer_store_dwordx4 v[36:39], v8, s[88:91], 0 offen       // 000000011F94: E07C1000 80162408
	v_add_u32_e32 v8, s56, v8                                  // 000000011F9C: 68101038
	v_cvt_pk_bf16_f32 v64, v112, v113                          // 000000011FA0: D2680040 0002E370
	v_cvt_pk_bf16_f32 v65, v114, v115                          // 000000011FA8: D2680041 0002E772
	v_cvt_pk_bf16_f32 v66, v116, v117                          // 000000011FB0: D2680042 0002EB74
	v_cvt_pk_bf16_f32 v67, v118, v119                          // 000000011FB8: D2680043 0002EF76
	v_cvt_pk_bf16_f32 v68, v120, v121                          // 000000011FC0: D2680044 0002F378
	v_cvt_pk_bf16_f32 v69, v122, v123                          // 000000011FC8: D2680045 0002F77A
	v_cvt_pk_bf16_f32 v70, v124, v125                          // 000000011FD0: D2680046 0002FB7C
	v_cvt_pk_bf16_f32 v71, v126, v127                          // 000000011FD8: D2680047 0002FF7E
	v_permlane32_swap_b32_e32 v64, v66                         // 000000011FE0: 7E80B542
	v_permlane32_swap_b32_e32 v65, v67                         // 000000011FE4: 7E82B543
	v_permlane32_swap_b32_e32 v68, v70                         // 000000011FE8: 7E88B546
	v_permlane32_swap_b32_e32 v69, v71                         // 000000011FEC: 7E8AB547
	s_nop 1                                                    // 000000011FF0: BF800001
	v_permlane16_swap_b32_e32 v64, v68                         // 000000011FF4: 7E80B344
	v_permlane16_swap_b32_e32 v65, v69                         // 000000011FF8: 7E82B345
	v_permlane16_swap_b32_e32 v66, v70                         // 000000011FFC: 7E84B346
	v_permlane16_swap_b32_e32 v67, v71                         // 000000012000: 7E86B347
	ds_bpermute_b32 v32, v28, v64                              // 000000012004: D87E0000 2000401C
	ds_bpermute_b32 v33, v28, v65                              // 00000001200C: D87E0000 2100411C
	ds_bpermute_b32 v34, v28, v66                              // 000000012014: D87E0000 2200421C
	ds_bpermute_b32 v35, v28, v67                              // 00000001201C: D87E0000 2300431C
	ds_bpermute_b32 v36, v28, v68                              // 000000012024: D87E0000 2400441C
	ds_bpermute_b32 v37, v28, v69                              // 00000001202C: D87E0000 2500451C
	ds_bpermute_b32 v38, v28, v70                              // 000000012034: D87E0000 2600461C
	ds_bpermute_b32 v39, v28, v71                              // 00000001203C: D87E0000 2700471C
	s_waitcnt lgkmcnt(4)                                       // 000000012044: BF8CC47F
	buffer_store_dwordx4 v[32:35], v7, s[88:91], 0 offen       // 000000012048: E07C1000 80162007
	s_mov_b32 s56, 64                                          // 000000012050: BEB800C0
	v_add_u32_e32 v7, s56, v7                                  // 000000012054: 680E0E38
	s_waitcnt lgkmcnt(0)                                       // 000000012058: BF8CC07F
	buffer_store_dwordx4 v[36:39], v8, s[88:91], 0 offen       // 00000001205C: E07C1000 80162408
	v_add_u32_e32 v8, s56, v8                                  // 000000012064: 68101038
	v_cvt_pk_bf16_f32 v64, v128, v129                          // 000000012068: D2680040 00030380
	v_cvt_pk_bf16_f32 v65, v130, v131                          // 000000012070: D2680041 00030782
	v_cvt_pk_bf16_f32 v66, v132, v133                          // 000000012078: D2680042 00030B84
	v_cvt_pk_bf16_f32 v67, v134, v135                          // 000000012080: D2680043 00030F86
	v_cvt_pk_bf16_f32 v68, v136, v137                          // 000000012088: D2680044 00031388
	v_cvt_pk_bf16_f32 v69, v138, v139                          // 000000012090: D2680045 0003178A
	v_cvt_pk_bf16_f32 v70, v140, v141                          // 000000012098: D2680046 00031B8C
	v_cvt_pk_bf16_f32 v71, v142, v143                          // 0000000120A0: D2680047 00031F8E
	v_permlane32_swap_b32_e32 v64, v66                         // 0000000120A8: 7E80B542
	v_permlane32_swap_b32_e32 v65, v67                         // 0000000120AC: 7E82B543
	v_permlane32_swap_b32_e32 v68, v70                         // 0000000120B0: 7E88B546
	v_permlane32_swap_b32_e32 v69, v71                         // 0000000120B4: 7E8AB547
	s_nop 1                                                    // 0000000120B8: BF800001
	v_permlane16_swap_b32_e32 v64, v68                         // 0000000120BC: 7E80B344
	v_permlane16_swap_b32_e32 v65, v69                         // 0000000120C0: 7E82B345
	v_permlane16_swap_b32_e32 v66, v70                         // 0000000120C4: 7E84B346
	v_permlane16_swap_b32_e32 v67, v71                         // 0000000120C8: 7E86B347
	ds_bpermute_b32 v32, v28, v64                              // 0000000120CC: D87E0000 2000401C
	ds_bpermute_b32 v33, v28, v65                              // 0000000120D4: D87E0000 2100411C
	ds_bpermute_b32 v34, v28, v66                              // 0000000120DC: D87E0000 2200421C
	ds_bpermute_b32 v35, v28, v67                              // 0000000120E4: D87E0000 2300431C
	ds_bpermute_b32 v36, v28, v68                              // 0000000120EC: D87E0000 2400441C
	ds_bpermute_b32 v37, v28, v69                              // 0000000120F4: D87E0000 2500451C
	ds_bpermute_b32 v38, v28, v70                              // 0000000120FC: D87E0000 2600461C
	ds_bpermute_b32 v39, v28, v71                              // 000000012104: D87E0000 2700471C
	s_waitcnt lgkmcnt(4)                                       // 00000001210C: BF8CC47F
	buffer_store_dwordx4 v[32:35], v7, s[88:91], 0 offen       // 000000012110: E07C1000 80162007
	s_mov_b32 s56, 64                                          // 000000012118: BEB800C0
	v_add_u32_e32 v7, s56, v7                                  // 00000001211C: 680E0E38
	s_waitcnt lgkmcnt(0)                                       // 000000012120: BF8CC07F
	buffer_store_dwordx4 v[36:39], v8, s[88:91], 0 offen       // 000000012124: E07C1000 80162408
	v_add_u32_e32 v8, s56, v8                                  // 00000001212C: 68101038
	v_cvt_pk_bf16_f32 v64, v144, v145                          // 000000012130: D2680040 00032390
	v_cvt_pk_bf16_f32 v65, v146, v147                          // 000000012138: D2680041 00032792
	v_cvt_pk_bf16_f32 v66, v148, v149                          // 000000012140: D2680042 00032B94
	v_cvt_pk_bf16_f32 v67, v150, v151                          // 000000012148: D2680043 00032F96
	v_cvt_pk_bf16_f32 v68, v152, v153                          // 000000012150: D2680044 00033398
	v_cvt_pk_bf16_f32 v69, v154, v155                          // 000000012158: D2680045 0003379A
	v_cvt_pk_bf16_f32 v70, v156, v157                          // 000000012160: D2680046 00033B9C
	v_cvt_pk_bf16_f32 v71, v158, v159                          // 000000012168: D2680047 00033F9E
	v_permlane32_swap_b32_e32 v64, v66                         // 000000012170: 7E80B542
	v_permlane32_swap_b32_e32 v65, v67                         // 000000012174: 7E82B543
	v_permlane32_swap_b32_e32 v68, v70                         // 000000012178: 7E88B546
	v_permlane32_swap_b32_e32 v69, v71                         // 00000001217C: 7E8AB547
	s_nop 1                                                    // 000000012180: BF800001
	v_permlane16_swap_b32_e32 v64, v68                         // 000000012184: 7E80B344
	v_permlane16_swap_b32_e32 v65, v69                         // 000000012188: 7E82B345
	v_permlane16_swap_b32_e32 v66, v70                         // 00000001218C: 7E84B346
	v_permlane16_swap_b32_e32 v67, v71                         // 000000012190: 7E86B347
	ds_bpermute_b32 v32, v28, v64                              // 000000012194: D87E0000 2000401C
	ds_bpermute_b32 v33, v28, v65                              // 00000001219C: D87E0000 2100411C
	ds_bpermute_b32 v34, v28, v66                              // 0000000121A4: D87E0000 2200421C
	ds_bpermute_b32 v35, v28, v67                              // 0000000121AC: D87E0000 2300431C
	ds_bpermute_b32 v36, v28, v68                              // 0000000121B4: D87E0000 2400441C
	ds_bpermute_b32 v37, v28, v69                              // 0000000121BC: D87E0000 2500451C
	ds_bpermute_b32 v38, v28, v70                              // 0000000121C4: D87E0000 2600461C
	ds_bpermute_b32 v39, v28, v71                              // 0000000121CC: D87E0000 2700471C
	s_waitcnt lgkmcnt(4)                                       // 0000000121D4: BF8CC47F
	buffer_store_dwordx4 v[32:35], v7, s[88:91], 0 offen       // 0000000121D8: E07C1000 80162007
	s_mov_b32 s56, 64                                          // 0000000121E0: BEB800C0
	v_add_u32_e32 v7, s56, v7                                  // 0000000121E4: 680E0E38
	s_waitcnt lgkmcnt(0)                                       // 0000000121E8: BF8CC07F
	buffer_store_dwordx4 v[36:39], v8, s[88:91], 0 offen       // 0000000121EC: E07C1000 80162408
	v_add_u32_e32 v8, s56, v8                                  // 0000000121F4: 68101038
	v_cvt_pk_bf16_f32 v64, v160, v161                          // 0000000121F8: D2680040 000343A0
	v_cvt_pk_bf16_f32 v65, v162, v163                          // 000000012200: D2680041 000347A2
	v_cvt_pk_bf16_f32 v66, v164, v165                          // 000000012208: D2680042 00034BA4
	v_cvt_pk_bf16_f32 v67, v166, v167                          // 000000012210: D2680043 00034FA6
	v_cvt_pk_bf16_f32 v68, v168, v169                          // 000000012218: D2680044 000353A8
	v_cvt_pk_bf16_f32 v69, v170, v171                          // 000000012220: D2680045 000357AA
	v_cvt_pk_bf16_f32 v70, v172, v173                          // 000000012228: D2680046 00035BAC
	v_cvt_pk_bf16_f32 v71, v174, v175                          // 000000012230: D2680047 00035FAE
	v_permlane32_swap_b32_e32 v64, v66                         // 000000012238: 7E80B542
	v_permlane32_swap_b32_e32 v65, v67                         // 00000001223C: 7E82B543
	v_permlane32_swap_b32_e32 v68, v70                         // 000000012240: 7E88B546
	v_permlane32_swap_b32_e32 v69, v71                         // 000000012244: 7E8AB547
	s_nop 1                                                    // 000000012248: BF800001
	v_permlane16_swap_b32_e32 v64, v68                         // 00000001224C: 7E80B344
	v_permlane16_swap_b32_e32 v65, v69                         // 000000012250: 7E82B345
	v_permlane16_swap_b32_e32 v66, v70                         // 000000012254: 7E84B346
	v_permlane16_swap_b32_e32 v67, v71                         // 000000012258: 7E86B347
	ds_bpermute_b32 v32, v28, v64                              // 00000001225C: D87E0000 2000401C
	ds_bpermute_b32 v33, v28, v65                              // 000000012264: D87E0000 2100411C
	ds_bpermute_b32 v34, v28, v66                              // 00000001226C: D87E0000 2200421C
	ds_bpermute_b32 v35, v28, v67                              // 000000012274: D87E0000 2300431C
	ds_bpermute_b32 v36, v28, v68                              // 00000001227C: D87E0000 2400441C
	ds_bpermute_b32 v37, v28, v69                              // 000000012284: D87E0000 2500451C
	ds_bpermute_b32 v38, v28, v70                              // 00000001228C: D87E0000 2600461C
	ds_bpermute_b32 v39, v28, v71                              // 000000012294: D87E0000 2700471C
	s_waitcnt lgkmcnt(4)                                       // 00000001229C: BF8CC47F
	buffer_store_dwordx4 v[32:35], v7, s[88:91], 0 offen       // 0000000122A0: E07C1000 80162007
	s_mov_b32 s56, 64                                          // 0000000122A8: BEB800C0
	v_add_u32_e32 v7, s56, v7                                  // 0000000122AC: 680E0E38
	s_waitcnt lgkmcnt(0)                                       // 0000000122B0: BF8CC07F
	buffer_store_dwordx4 v[36:39], v8, s[88:91], 0 offen       // 0000000122B4: E07C1000 80162408
	v_add_u32_e32 v8, s56, v8                                  // 0000000122BC: 68101038
	v_cvt_pk_bf16_f32 v64, v176, v177                          // 0000000122C0: D2680040 000363B0
	v_cvt_pk_bf16_f32 v65, v178, v179                          // 0000000122C8: D2680041 000367B2
	v_cvt_pk_bf16_f32 v66, v180, v181                          // 0000000122D0: D2680042 00036BB4
	v_cvt_pk_bf16_f32 v67, v182, v183                          // 0000000122D8: D2680043 00036FB6
	v_cvt_pk_bf16_f32 v68, v184, v185                          // 0000000122E0: D2680044 000373B8
	v_cvt_pk_bf16_f32 v69, v186, v187                          // 0000000122E8: D2680045 000377BA
	v_cvt_pk_bf16_f32 v70, v188, v189                          // 0000000122F0: D2680046 00037BBC
	v_cvt_pk_bf16_f32 v71, v190, v191                          // 0000000122F8: D2680047 00037FBE
	v_permlane32_swap_b32_e32 v64, v66                         // 000000012300: 7E80B542
	v_permlane32_swap_b32_e32 v65, v67                         // 000000012304: 7E82B543
	v_permlane32_swap_b32_e32 v68, v70                         // 000000012308: 7E88B546
	v_permlane32_swap_b32_e32 v69, v71                         // 00000001230C: 7E8AB547
	s_nop 1                                                    // 000000012310: BF800001
	v_permlane16_swap_b32_e32 v64, v68                         // 000000012314: 7E80B344
	v_permlane16_swap_b32_e32 v65, v69                         // 000000012318: 7E82B345
	v_permlane16_swap_b32_e32 v66, v70                         // 00000001231C: 7E84B346
	v_permlane16_swap_b32_e32 v67, v71                         // 000000012320: 7E86B347
	ds_bpermute_b32 v32, v28, v64                              // 000000012324: D87E0000 2000401C
	ds_bpermute_b32 v33, v28, v65                              // 00000001232C: D87E0000 2100411C
	ds_bpermute_b32 v34, v28, v66                              // 000000012334: D87E0000 2200421C
	ds_bpermute_b32 v35, v28, v67                              // 00000001233C: D87E0000 2300431C
	ds_bpermute_b32 v36, v28, v68                              // 000000012344: D87E0000 2400441C
	ds_bpermute_b32 v37, v28, v69                              // 00000001234C: D87E0000 2500451C
	ds_bpermute_b32 v38, v28, v70                              // 000000012354: D87E0000 2600461C
	ds_bpermute_b32 v39, v28, v71                              // 00000001235C: D87E0000 2700471C
	s_waitcnt lgkmcnt(4)                                       // 000000012364: BF8CC47F
	buffer_store_dwordx4 v[32:35], v7, s[88:91], 0 offen       // 000000012368: E07C1000 80162007
	s_mov_b32 s56, 64                                          // 000000012370: BEB800C0
	v_add_u32_e32 v7, s56, v7                                  // 000000012374: 680E0E38
	s_waitcnt lgkmcnt(0)                                       // 000000012378: BF8CC07F
	buffer_store_dwordx4 v[36:39], v8, s[88:91], 0 offen       // 00000001237C: E07C1000 80162408
	v_add_u32_e32 v8, s56, v8                                  // 000000012384: 68101038
	v_cvt_pk_bf16_f32 v64, v192, v193                          // 000000012388: D2680040 000383C0
	v_cvt_pk_bf16_f32 v65, v194, v195                          // 000000012390: D2680041 000387C2
	v_cvt_pk_bf16_f32 v66, v196, v197                          // 000000012398: D2680042 00038BC4
	v_cvt_pk_bf16_f32 v67, v198, v199                          // 0000000123A0: D2680043 00038FC6
	v_cvt_pk_bf16_f32 v68, v200, v201                          // 0000000123A8: D2680044 000393C8
	v_cvt_pk_bf16_f32 v69, v202, v203                          // 0000000123B0: D2680045 000397CA
	v_cvt_pk_bf16_f32 v70, v204, v205                          // 0000000123B8: D2680046 00039BCC
	v_cvt_pk_bf16_f32 v71, v206, v207                          // 0000000123C0: D2680047 00039FCE
	v_permlane32_swap_b32_e32 v64, v66                         // 0000000123C8: 7E80B542
	v_permlane32_swap_b32_e32 v65, v67                         // 0000000123CC: 7E82B543
	v_permlane32_swap_b32_e32 v68, v70                         // 0000000123D0: 7E88B546
	v_permlane32_swap_b32_e32 v69, v71                         // 0000000123D4: 7E8AB547
	s_nop 1                                                    // 0000000123D8: BF800001
	v_permlane16_swap_b32_e32 v64, v68                         // 0000000123DC: 7E80B344
	v_permlane16_swap_b32_e32 v65, v69                         // 0000000123E0: 7E82B345
	v_permlane16_swap_b32_e32 v66, v70                         // 0000000123E4: 7E84B346
	v_permlane16_swap_b32_e32 v67, v71                         // 0000000123E8: 7E86B347
	ds_bpermute_b32 v32, v28, v64                              // 0000000123EC: D87E0000 2000401C
	ds_bpermute_b32 v33, v28, v65                              // 0000000123F4: D87E0000 2100411C
	ds_bpermute_b32 v34, v28, v66                              // 0000000123FC: D87E0000 2200421C
	ds_bpermute_b32 v35, v28, v67                              // 000000012404: D87E0000 2300431C
	ds_bpermute_b32 v36, v28, v68                              // 00000001240C: D87E0000 2400441C
	ds_bpermute_b32 v37, v28, v69                              // 000000012414: D87E0000 2500451C
	ds_bpermute_b32 v38, v28, v70                              // 00000001241C: D87E0000 2600461C
	ds_bpermute_b32 v39, v28, v71                              // 000000012424: D87E0000 2700471C
	s_waitcnt lgkmcnt(4)                                       // 00000001242C: BF8CC47F
	buffer_store_dwordx4 v[32:35], v7, s[88:91], 0 offen       // 000000012430: E07C1000 80162007
	s_mov_b32 s56, 64                                          // 000000012438: BEB800C0
	v_add_u32_e32 v7, s56, v7                                  // 00000001243C: 680E0E38
	s_waitcnt lgkmcnt(0)                                       // 000000012440: BF8CC07F
	buffer_store_dwordx4 v[36:39], v8, s[88:91], 0 offen       // 000000012444: E07C1000 80162408
	v_add_u32_e32 v8, s56, v8                                  // 00000001244C: 68101038
	v_cvt_pk_bf16_f32 v64, v208, v209                          // 000000012450: D2680040 0003A3D0
	v_cvt_pk_bf16_f32 v65, v210, v211                          // 000000012458: D2680041 0003A7D2
	v_cvt_pk_bf16_f32 v66, v212, v213                          // 000000012460: D2680042 0003ABD4
	v_cvt_pk_bf16_f32 v67, v214, v215                          // 000000012468: D2680043 0003AFD6
	v_cvt_pk_bf16_f32 v68, v216, v217                          // 000000012470: D2680044 0003B3D8
	v_cvt_pk_bf16_f32 v69, v218, v219                          // 000000012478: D2680045 0003B7DA
	v_cvt_pk_bf16_f32 v70, v220, v221                          // 000000012480: D2680046 0003BBDC
	v_cvt_pk_bf16_f32 v71, v222, v223                          // 000000012488: D2680047 0003BFDE
	v_permlane32_swap_b32_e32 v64, v66                         // 000000012490: 7E80B542
	v_permlane32_swap_b32_e32 v65, v67                         // 000000012494: 7E82B543
	v_permlane32_swap_b32_e32 v68, v70                         // 000000012498: 7E88B546
	v_permlane32_swap_b32_e32 v69, v71                         // 00000001249C: 7E8AB547
	s_nop 1                                                    // 0000000124A0: BF800001
	v_permlane16_swap_b32_e32 v64, v68                         // 0000000124A4: 7E80B344
	v_permlane16_swap_b32_e32 v65, v69                         // 0000000124A8: 7E82B345
	v_permlane16_swap_b32_e32 v66, v70                         // 0000000124AC: 7E84B346
	v_permlane16_swap_b32_e32 v67, v71                         // 0000000124B0: 7E86B347
	ds_bpermute_b32 v32, v28, v64                              // 0000000124B4: D87E0000 2000401C
	ds_bpermute_b32 v33, v28, v65                              // 0000000124BC: D87E0000 2100411C
	ds_bpermute_b32 v34, v28, v66                              // 0000000124C4: D87E0000 2200421C
	ds_bpermute_b32 v35, v28, v67                              // 0000000124CC: D87E0000 2300431C
	ds_bpermute_b32 v36, v28, v68                              // 0000000124D4: D87E0000 2400441C
	ds_bpermute_b32 v37, v28, v69                              // 0000000124DC: D87E0000 2500451C
	ds_bpermute_b32 v38, v28, v70                              // 0000000124E4: D87E0000 2600461C
	ds_bpermute_b32 v39, v28, v71                              // 0000000124EC: D87E0000 2700471C
	s_waitcnt lgkmcnt(4)                                       // 0000000124F4: BF8CC47F
	buffer_store_dwordx4 v[32:35], v7, s[88:91], 0 offen       // 0000000124F8: E07C1000 80162007
	s_mov_b32 s56, 64                                          // 000000012500: BEB800C0
	v_add_u32_e32 v7, s56, v7                                  // 000000012504: 680E0E38
	s_waitcnt lgkmcnt(0)                                       // 000000012508: BF8CC07F
	buffer_store_dwordx4 v[36:39], v8, s[88:91], 0 offen       // 00000001250C: E07C1000 80162408
	v_add_u32_e32 v8, s56, v8                                  // 000000012514: 68101038
	v_and_b32_e32 v28, 1, v0                                   // 000000012518: 26380081
	v_lshlrev_b32_e32 v28, 5, v28                              // 00000001251C: 24383885
	v_and_b32_e32 v29, 3, v0                                   // 000000012520: 263A0083
	v_lshrrev_b32_e32 v29, 1, v29                              // 000000012524: 203A3A81
	v_lshlrev_b32_e32 v29, 4, v29                              // 000000012528: 243A3A84
	v_add_u32_e32 v28, v28, v29                                // 00000001252C: 68383B1C
	v_lshrrev_b32_e32 v29, 2, v0                               // 000000012530: 203A0082
	v_add_u32_e32 v28, v28, v29                                // 000000012534: 68383B1C
	v_lshlrev_b32_e32 v28, 2, v28                              // 000000012538: 24383882
	v_lshlrev_b32_e32 v30, 4, v0                               // 00000001253C: 243C0084
	v_accvgpr_read_b32 v64, a144                               // 000000012540: D3D84040 18000190
	v_accvgpr_read_b32 v65, a145                               // 000000012548: D3D84041 18000191
	v_accvgpr_read_b32 v66, a146                               // 000000012550: D3D84042 18000192
	v_accvgpr_read_b32 v67, a147                               // 000000012558: D3D84043 18000193
	v_accvgpr_read_b32 v68, a148                               // 000000012560: D3D84044 18000194
	v_accvgpr_read_b32 v69, a149                               // 000000012568: D3D84045 18000195
	v_accvgpr_read_b32 v70, a150                               // 000000012570: D3D84046 18000196
	v_accvgpr_read_b32 v71, a151                               // 000000012578: D3D84047 18000197
	v_accvgpr_read_b32 v72, a152                               // 000000012580: D3D84048 18000198
	v_accvgpr_read_b32 v73, a153                               // 000000012588: D3D84049 18000199
	v_accvgpr_read_b32 v74, a154                               // 000000012590: D3D8404A 1800019A
	v_accvgpr_read_b32 v75, a155                               // 000000012598: D3D8404B 1800019B
	v_accvgpr_read_b32 v76, a156                               // 0000000125A0: D3D8404C 1800019C
	v_accvgpr_read_b32 v77, a157                               // 0000000125A8: D3D8404D 1800019D
	v_accvgpr_read_b32 v78, a158                               // 0000000125B0: D3D8404E 1800019E
	v_accvgpr_read_b32 v79, a159                               // 0000000125B8: D3D8404F 1800019F
	v_cvt_pk_bf16_f32 v64, v64, v65                            // 0000000125C0: D2680040 00028340
	v_cvt_pk_bf16_f32 v65, v66, v67                            // 0000000125C8: D2680041 00028742
	v_cvt_pk_bf16_f32 v66, v68, v69                            // 0000000125D0: D2680042 00028B44
	v_cvt_pk_bf16_f32 v67, v70, v71                            // 0000000125D8: D2680043 00028F46
	v_cvt_pk_bf16_f32 v68, v72, v73                            // 0000000125E0: D2680044 00029348
	v_cvt_pk_bf16_f32 v69, v74, v75                            // 0000000125E8: D2680045 0002974A
	v_cvt_pk_bf16_f32 v70, v76, v77                            // 0000000125F0: D2680046 00029B4C
	v_cvt_pk_bf16_f32 v71, v78, v79                            // 0000000125F8: D2680047 00029F4E
	v_permlane32_swap_b32_e32 v64, v66                         // 000000012600: 7E80B542
	v_permlane32_swap_b32_e32 v65, v67                         // 000000012604: 7E82B543
	v_permlane32_swap_b32_e32 v68, v70                         // 000000012608: 7E88B546
	v_permlane32_swap_b32_e32 v69, v71                         // 00000001260C: 7E8AB547
	s_nop 1                                                    // 000000012610: BF800001
	v_permlane16_swap_b32_e32 v64, v68                         // 000000012614: 7E80B344
	v_permlane16_swap_b32_e32 v65, v69                         // 000000012618: 7E82B345
	v_permlane16_swap_b32_e32 v66, v70                         // 00000001261C: 7E84B346
	v_permlane16_swap_b32_e32 v67, v71                         // 000000012620: 7E86B347
	ds_bpermute_b32 v32, v28, v64                              // 000000012624: D87E0000 2000401C
	ds_bpermute_b32 v33, v28, v65                              // 00000001262C: D87E0000 2100411C
	ds_bpermute_b32 v34, v28, v66                              // 000000012634: D87E0000 2200421C
	ds_bpermute_b32 v35, v28, v67                              // 00000001263C: D87E0000 2300431C
	ds_bpermute_b32 v36, v28, v68                              // 000000012644: D87E0000 2400441C
	ds_bpermute_b32 v37, v28, v69                              // 00000001264C: D87E0000 2500451C
	ds_bpermute_b32 v38, v28, v70                              // 000000012654: D87E0000 2600461C
	ds_bpermute_b32 v39, v28, v71                              // 00000001265C: D87E0000 2700471C
	s_waitcnt lgkmcnt(4)                                       // 000000012664: BF8CC47F
	buffer_store_dwordx4 v[32:35], v7, s[88:91], 0 offen       // 000000012668: E07C1000 80162007
	s_mov_b32 s56, 64                                          // 000000012670: BEB800C0
	v_add_u32_e32 v7, s56, v7                                  // 000000012674: 680E0E38
	s_waitcnt lgkmcnt(0)                                       // 000000012678: BF8CC07F
	buffer_store_dwordx4 v[36:39], v8, s[88:91], 0 offen       // 00000001267C: E07C1000 80162408
	v_add_u32_e32 v8, s56, v8                                  // 000000012684: 68101038
	v_accvgpr_read_b32 v64, a160                               // 000000012688: D3D84040 180001A0
	v_accvgpr_read_b32 v65, a161                               // 000000012690: D3D84041 180001A1
	v_accvgpr_read_b32 v66, a162                               // 000000012698: D3D84042 180001A2
	v_accvgpr_read_b32 v67, a163                               // 0000000126A0: D3D84043 180001A3
	v_accvgpr_read_b32 v68, a164                               // 0000000126A8: D3D84044 180001A4
	v_accvgpr_read_b32 v69, a165                               // 0000000126B0: D3D84045 180001A5
	v_accvgpr_read_b32 v70, a166                               // 0000000126B8: D3D84046 180001A6
	v_accvgpr_read_b32 v71, a167                               // 0000000126C0: D3D84047 180001A7
	v_accvgpr_read_b32 v72, a168                               // 0000000126C8: D3D84048 180001A8
	v_accvgpr_read_b32 v73, a169                               // 0000000126D0: D3D84049 180001A9
	v_accvgpr_read_b32 v74, a170                               // 0000000126D8: D3D8404A 180001AA
	v_accvgpr_read_b32 v75, a171                               // 0000000126E0: D3D8404B 180001AB
	v_accvgpr_read_b32 v76, a172                               // 0000000126E8: D3D8404C 180001AC
	v_accvgpr_read_b32 v77, a173                               // 0000000126F0: D3D8404D 180001AD
	v_accvgpr_read_b32 v78, a174                               // 0000000126F8: D3D8404E 180001AE
	v_accvgpr_read_b32 v79, a175                               // 000000012700: D3D8404F 180001AF
	v_cvt_pk_bf16_f32 v64, v64, v65                            // 000000012708: D2680040 00028340
	v_cvt_pk_bf16_f32 v65, v66, v67                            // 000000012710: D2680041 00028742
	v_cvt_pk_bf16_f32 v66, v68, v69                            // 000000012718: D2680042 00028B44
	v_cvt_pk_bf16_f32 v67, v70, v71                            // 000000012720: D2680043 00028F46
	v_cvt_pk_bf16_f32 v68, v72, v73                            // 000000012728: D2680044 00029348
	v_cvt_pk_bf16_f32 v69, v74, v75                            // 000000012730: D2680045 0002974A
	v_cvt_pk_bf16_f32 v70, v76, v77                            // 000000012738: D2680046 00029B4C
	v_cvt_pk_bf16_f32 v71, v78, v79                            // 000000012740: D2680047 00029F4E
	v_permlane32_swap_b32_e32 v64, v66                         // 000000012748: 7E80B542
	v_permlane32_swap_b32_e32 v65, v67                         // 00000001274C: 7E82B543
	v_permlane32_swap_b32_e32 v68, v70                         // 000000012750: 7E88B546
	v_permlane32_swap_b32_e32 v69, v71                         // 000000012754: 7E8AB547
	s_nop 1                                                    // 000000012758: BF800001
	v_permlane16_swap_b32_e32 v64, v68                         // 00000001275C: 7E80B344
	v_permlane16_swap_b32_e32 v65, v69                         // 000000012760: 7E82B345
	v_permlane16_swap_b32_e32 v66, v70                         // 000000012764: 7E84B346
	v_permlane16_swap_b32_e32 v67, v71                         // 000000012768: 7E86B347
	ds_bpermute_b32 v32, v28, v64                              // 00000001276C: D87E0000 2000401C
	ds_bpermute_b32 v33, v28, v65                              // 000000012774: D87E0000 2100411C
	ds_bpermute_b32 v34, v28, v66                              // 00000001277C: D87E0000 2200421C
	ds_bpermute_b32 v35, v28, v67                              // 000000012784: D87E0000 2300431C
	ds_bpermute_b32 v36, v28, v68                              // 00000001278C: D87E0000 2400441C
	ds_bpermute_b32 v37, v28, v69                              // 000000012794: D87E0000 2500451C
	ds_bpermute_b32 v38, v28, v70                              // 00000001279C: D87E0000 2600461C
	ds_bpermute_b32 v39, v28, v71                              // 0000000127A4: D87E0000 2700471C
	s_waitcnt lgkmcnt(4)                                       // 0000000127AC: BF8CC47F
	buffer_store_dwordx4 v[32:35], v7, s[88:91], 0 offen       // 0000000127B0: E07C1000 80162007
	s_mov_b32 s56, 64                                          // 0000000127B8: BEB800C0
	v_add_u32_e32 v7, s56, v7                                  // 0000000127BC: 680E0E38
	s_waitcnt lgkmcnt(0)                                       // 0000000127C0: BF8CC07F
	buffer_store_dwordx4 v[36:39], v8, s[88:91], 0 offen       // 0000000127C4: E07C1000 80162408
	v_add_u32_e32 v8, s56, v8                                  // 0000000127CC: 68101038
	v_accvgpr_read_b32 v64, a176                               // 0000000127D0: D3D84040 180001B0
	v_accvgpr_read_b32 v65, a177                               // 0000000127D8: D3D84041 180001B1
	v_accvgpr_read_b32 v66, a178                               // 0000000127E0: D3D84042 180001B2
	v_accvgpr_read_b32 v67, a179                               // 0000000127E8: D3D84043 180001B3
	v_accvgpr_read_b32 v68, a180                               // 0000000127F0: D3D84044 180001B4
	v_accvgpr_read_b32 v69, a181                               // 0000000127F8: D3D84045 180001B5
	v_accvgpr_read_b32 v70, a182                               // 000000012800: D3D84046 180001B6
	v_accvgpr_read_b32 v71, a183                               // 000000012808: D3D84047 180001B7
	v_accvgpr_read_b32 v72, a184                               // 000000012810: D3D84048 180001B8
	v_accvgpr_read_b32 v73, a185                               // 000000012818: D3D84049 180001B9
	v_accvgpr_read_b32 v74, a186                               // 000000012820: D3D8404A 180001BA
	v_accvgpr_read_b32 v75, a187                               // 000000012828: D3D8404B 180001BB
	v_accvgpr_read_b32 v76, a188                               // 000000012830: D3D8404C 180001BC
	v_accvgpr_read_b32 v77, a189                               // 000000012838: D3D8404D 180001BD
	v_accvgpr_read_b32 v78, a190                               // 000000012840: D3D8404E 180001BE
	v_accvgpr_read_b32 v79, a191                               // 000000012848: D3D8404F 180001BF
	v_cvt_pk_bf16_f32 v64, v64, v65                            // 000000012850: D2680040 00028340
	v_cvt_pk_bf16_f32 v65, v66, v67                            // 000000012858: D2680041 00028742
	v_cvt_pk_bf16_f32 v66, v68, v69                            // 000000012860: D2680042 00028B44
	v_cvt_pk_bf16_f32 v67, v70, v71                            // 000000012868: D2680043 00028F46
	v_cvt_pk_bf16_f32 v68, v72, v73                            // 000000012870: D2680044 00029348
	v_cvt_pk_bf16_f32 v69, v74, v75                            // 000000012878: D2680045 0002974A
	v_cvt_pk_bf16_f32 v70, v76, v77                            // 000000012880: D2680046 00029B4C
	v_cvt_pk_bf16_f32 v71, v78, v79                            // 000000012888: D2680047 00029F4E
	v_permlane32_swap_b32_e32 v64, v66                         // 000000012890: 7E80B542
	v_permlane32_swap_b32_e32 v65, v67                         // 000000012894: 7E82B543
	v_permlane32_swap_b32_e32 v68, v70                         // 000000012898: 7E88B546
	v_permlane32_swap_b32_e32 v69, v71                         // 00000001289C: 7E8AB547
	s_nop 1                                                    // 0000000128A0: BF800001
	v_permlane16_swap_b32_e32 v64, v68                         // 0000000128A4: 7E80B344
	v_permlane16_swap_b32_e32 v65, v69                         // 0000000128A8: 7E82B345
	v_permlane16_swap_b32_e32 v66, v70                         // 0000000128AC: 7E84B346
	v_permlane16_swap_b32_e32 v67, v71                         // 0000000128B0: 7E86B347
	ds_bpermute_b32 v32, v28, v64                              // 0000000128B4: D87E0000 2000401C
	ds_bpermute_b32 v33, v28, v65                              // 0000000128BC: D87E0000 2100411C
	ds_bpermute_b32 v34, v28, v66                              // 0000000128C4: D87E0000 2200421C
	ds_bpermute_b32 v35, v28, v67                              // 0000000128CC: D87E0000 2300431C
	ds_bpermute_b32 v36, v28, v68                              // 0000000128D4: D87E0000 2400441C
	ds_bpermute_b32 v37, v28, v69                              // 0000000128DC: D87E0000 2500451C
	ds_bpermute_b32 v38, v28, v70                              // 0000000128E4: D87E0000 2600461C
	ds_bpermute_b32 v39, v28, v71                              // 0000000128EC: D87E0000 2700471C
	s_waitcnt lgkmcnt(4)                                       // 0000000128F4: BF8CC47F
	buffer_store_dwordx4 v[32:35], v7, s[88:91], 0 offen       // 0000000128F8: E07C1000 80162007
	s_mov_b32 s56, 64                                          // 000000012900: BEB800C0
	v_add_u32_e32 v7, s56, v7                                  // 000000012904: 680E0E38
	s_waitcnt lgkmcnt(0)                                       // 000000012908: BF8CC07F
	buffer_store_dwordx4 v[36:39], v8, s[88:91], 0 offen       // 00000001290C: E07C1000 80162408
	v_add_u32_e32 v8, s56, v8                                  // 000000012914: 68101038
	v_accvgpr_read_b32 v64, a192                               // 000000012918: D3D84040 180001C0
	v_accvgpr_read_b32 v65, a193                               // 000000012920: D3D84041 180001C1
	v_accvgpr_read_b32 v66, a194                               // 000000012928: D3D84042 180001C2
	v_accvgpr_read_b32 v67, a195                               // 000000012930: D3D84043 180001C3
	v_accvgpr_read_b32 v68, a196                               // 000000012938: D3D84044 180001C4
	v_accvgpr_read_b32 v69, a197                               // 000000012940: D3D84045 180001C5
	v_accvgpr_read_b32 v70, a198                               // 000000012948: D3D84046 180001C6
	v_accvgpr_read_b32 v71, a199                               // 000000012950: D3D84047 180001C7
	v_accvgpr_read_b32 v72, a200                               // 000000012958: D3D84048 180001C8
	v_accvgpr_read_b32 v73, a201                               // 000000012960: D3D84049 180001C9
	v_accvgpr_read_b32 v74, a202                               // 000000012968: D3D8404A 180001CA
	v_accvgpr_read_b32 v75, a203                               // 000000012970: D3D8404B 180001CB
	v_accvgpr_read_b32 v76, a204                               // 000000012978: D3D8404C 180001CC
	v_accvgpr_read_b32 v77, a205                               // 000000012980: D3D8404D 180001CD
	v_accvgpr_read_b32 v78, a206                               // 000000012988: D3D8404E 180001CE
	v_accvgpr_read_b32 v79, a207                               // 000000012990: D3D8404F 180001CF
	v_cvt_pk_bf16_f32 v64, v64, v65                            // 000000012998: D2680040 00028340
	v_cvt_pk_bf16_f32 v65, v66, v67                            // 0000000129A0: D2680041 00028742
	v_cvt_pk_bf16_f32 v66, v68, v69                            // 0000000129A8: D2680042 00028B44
	v_cvt_pk_bf16_f32 v67, v70, v71                            // 0000000129B0: D2680043 00028F46
	v_cvt_pk_bf16_f32 v68, v72, v73                            // 0000000129B8: D2680044 00029348
	v_cvt_pk_bf16_f32 v69, v74, v75                            // 0000000129C0: D2680045 0002974A
	v_cvt_pk_bf16_f32 v70, v76, v77                            // 0000000129C8: D2680046 00029B4C
	v_cvt_pk_bf16_f32 v71, v78, v79                            // 0000000129D0: D2680047 00029F4E
	v_permlane32_swap_b32_e32 v64, v66                         // 0000000129D8: 7E80B542
	v_permlane32_swap_b32_e32 v65, v67                         // 0000000129DC: 7E82B543
	v_permlane32_swap_b32_e32 v68, v70                         // 0000000129E0: 7E88B546
	v_permlane32_swap_b32_e32 v69, v71                         // 0000000129E4: 7E8AB547
	s_nop 1                                                    // 0000000129E8: BF800001
	v_permlane16_swap_b32_e32 v64, v68                         // 0000000129EC: 7E80B344
	v_permlane16_swap_b32_e32 v65, v69                         // 0000000129F0: 7E82B345
	v_permlane16_swap_b32_e32 v66, v70                         // 0000000129F4: 7E84B346
	v_permlane16_swap_b32_e32 v67, v71                         // 0000000129F8: 7E86B347
	ds_bpermute_b32 v32, v28, v64                              // 0000000129FC: D87E0000 2000401C
	ds_bpermute_b32 v33, v28, v65                              // 000000012A04: D87E0000 2100411C
	ds_bpermute_b32 v34, v28, v66                              // 000000012A0C: D87E0000 2200421C
	ds_bpermute_b32 v35, v28, v67                              // 000000012A14: D87E0000 2300431C
	ds_bpermute_b32 v36, v28, v68                              // 000000012A1C: D87E0000 2400441C
	ds_bpermute_b32 v37, v28, v69                              // 000000012A24: D87E0000 2500451C
	ds_bpermute_b32 v38, v28, v70                              // 000000012A2C: D87E0000 2600461C
	ds_bpermute_b32 v39, v28, v71                              // 000000012A34: D87E0000 2700471C
	s_waitcnt lgkmcnt(4)                                       // 000000012A3C: BF8CC47F
	buffer_store_dwordx4 v[32:35], v7, s[88:91], 0 offen       // 000000012A40: E07C1000 80162007
	s_mov_b32 s56, 64                                          // 000000012A48: BEB800C0
	v_add_u32_e32 v7, s56, v7                                  // 000000012A4C: 680E0E38
	s_waitcnt lgkmcnt(0)                                       // 000000012A50: BF8CC07F
	buffer_store_dwordx4 v[36:39], v8, s[88:91], 0 offen       // 000000012A54: E07C1000 80162408
	v_add_u32_e32 v8, s56, v8                                  // 000000012A5C: 68101038
	v_accvgpr_read_b32 v64, a208                               // 000000012A60: D3D84040 180001D0
	v_accvgpr_read_b32 v65, a209                               // 000000012A68: D3D84041 180001D1
	v_accvgpr_read_b32 v66, a210                               // 000000012A70: D3D84042 180001D2
	v_accvgpr_read_b32 v67, a211                               // 000000012A78: D3D84043 180001D3
	v_accvgpr_read_b32 v68, a212                               // 000000012A80: D3D84044 180001D4
	v_accvgpr_read_b32 v69, a213                               // 000000012A88: D3D84045 180001D5
	v_accvgpr_read_b32 v70, a214                               // 000000012A90: D3D84046 180001D6
	v_accvgpr_read_b32 v71, a215                               // 000000012A98: D3D84047 180001D7
	v_accvgpr_read_b32 v72, a216                               // 000000012AA0: D3D84048 180001D8
	v_accvgpr_read_b32 v73, a217                               // 000000012AA8: D3D84049 180001D9
	v_accvgpr_read_b32 v74, a218                               // 000000012AB0: D3D8404A 180001DA
	v_accvgpr_read_b32 v75, a219                               // 000000012AB8: D3D8404B 180001DB
	v_accvgpr_read_b32 v76, a220                               // 000000012AC0: D3D8404C 180001DC
	v_accvgpr_read_b32 v77, a221                               // 000000012AC8: D3D8404D 180001DD
	v_accvgpr_read_b32 v78, a222                               // 000000012AD0: D3D8404E 180001DE
	v_accvgpr_read_b32 v79, a223                               // 000000012AD8: D3D8404F 180001DF
	v_cvt_pk_bf16_f32 v64, v64, v65                            // 000000012AE0: D2680040 00028340
	v_cvt_pk_bf16_f32 v65, v66, v67                            // 000000012AE8: D2680041 00028742
	v_cvt_pk_bf16_f32 v66, v68, v69                            // 000000012AF0: D2680042 00028B44
	v_cvt_pk_bf16_f32 v67, v70, v71                            // 000000012AF8: D2680043 00028F46
	v_cvt_pk_bf16_f32 v68, v72, v73                            // 000000012B00: D2680044 00029348
	v_cvt_pk_bf16_f32 v69, v74, v75                            // 000000012B08: D2680045 0002974A
	v_cvt_pk_bf16_f32 v70, v76, v77                            // 000000012B10: D2680046 00029B4C
	v_cvt_pk_bf16_f32 v71, v78, v79                            // 000000012B18: D2680047 00029F4E
	v_permlane32_swap_b32_e32 v64, v66                         // 000000012B20: 7E80B542
	v_permlane32_swap_b32_e32 v65, v67                         // 000000012B24: 7E82B543
	v_permlane32_swap_b32_e32 v68, v70                         // 000000012B28: 7E88B546
	v_permlane32_swap_b32_e32 v69, v71                         // 000000012B2C: 7E8AB547
	s_nop 1                                                    // 000000012B30: BF800001
	v_permlane16_swap_b32_e32 v64, v68                         // 000000012B34: 7E80B344
	v_permlane16_swap_b32_e32 v65, v69                         // 000000012B38: 7E82B345
	v_permlane16_swap_b32_e32 v66, v70                         // 000000012B3C: 7E84B346
	v_permlane16_swap_b32_e32 v67, v71                         // 000000012B40: 7E86B347
	ds_bpermute_b32 v32, v28, v64                              // 000000012B44: D87E0000 2000401C
	ds_bpermute_b32 v33, v28, v65                              // 000000012B4C: D87E0000 2100411C
	ds_bpermute_b32 v34, v28, v66                              // 000000012B54: D87E0000 2200421C
	ds_bpermute_b32 v35, v28, v67                              // 000000012B5C: D87E0000 2300431C
	ds_bpermute_b32 v36, v28, v68                              // 000000012B64: D87E0000 2400441C
	ds_bpermute_b32 v37, v28, v69                              // 000000012B6C: D87E0000 2500451C
	ds_bpermute_b32 v38, v28, v70                              // 000000012B74: D87E0000 2600461C
	ds_bpermute_b32 v39, v28, v71                              // 000000012B7C: D87E0000 2700471C
	s_waitcnt lgkmcnt(4)                                       // 000000012B84: BF8CC47F
	buffer_store_dwordx4 v[32:35], v7, s[88:91], 0 offen       // 000000012B88: E07C1000 80162007
	s_mov_b32 s56, 64                                          // 000000012B90: BEB800C0
	v_add_u32_e32 v7, s56, v7                                  // 000000012B94: 680E0E38
	s_waitcnt lgkmcnt(0)                                       // 000000012B98: BF8CC07F
	buffer_store_dwordx4 v[36:39], v8, s[88:91], 0 offen       // 000000012B9C: E07C1000 80162408
	v_add_u32_e32 v8, s56, v8                                  // 000000012BA4: 68101038
	v_accvgpr_read_b32 v64, a224                               // 000000012BA8: D3D84040 180001E0
	v_accvgpr_read_b32 v65, a225                               // 000000012BB0: D3D84041 180001E1
	v_accvgpr_read_b32 v66, a226                               // 000000012BB8: D3D84042 180001E2
	v_accvgpr_read_b32 v67, a227                               // 000000012BC0: D3D84043 180001E3
	v_accvgpr_read_b32 v68, a228                               // 000000012BC8: D3D84044 180001E4
	v_accvgpr_read_b32 v69, a229                               // 000000012BD0: D3D84045 180001E5
	v_accvgpr_read_b32 v70, a230                               // 000000012BD8: D3D84046 180001E6
	v_accvgpr_read_b32 v71, a231                               // 000000012BE0: D3D84047 180001E7
	v_accvgpr_read_b32 v72, a232                               // 000000012BE8: D3D84048 180001E8
	v_accvgpr_read_b32 v73, a233                               // 000000012BF0: D3D84049 180001E9
	v_accvgpr_read_b32 v74, a234                               // 000000012BF8: D3D8404A 180001EA
	v_accvgpr_read_b32 v75, a235                               // 000000012C00: D3D8404B 180001EB
	v_accvgpr_read_b32 v76, a236                               // 000000012C08: D3D8404C 180001EC
	v_accvgpr_read_b32 v77, a237                               // 000000012C10: D3D8404D 180001ED
	v_accvgpr_read_b32 v78, a238                               // 000000012C18: D3D8404E 180001EE
	v_accvgpr_read_b32 v79, a239                               // 000000012C20: D3D8404F 180001EF
	v_cvt_pk_bf16_f32 v64, v64, v65                            // 000000012C28: D2680040 00028340
	v_cvt_pk_bf16_f32 v65, v66, v67                            // 000000012C30: D2680041 00028742
	v_cvt_pk_bf16_f32 v66, v68, v69                            // 000000012C38: D2680042 00028B44
	v_cvt_pk_bf16_f32 v67, v70, v71                            // 000000012C40: D2680043 00028F46
	v_cvt_pk_bf16_f32 v68, v72, v73                            // 000000012C48: D2680044 00029348
	v_cvt_pk_bf16_f32 v69, v74, v75                            // 000000012C50: D2680045 0002974A
	v_cvt_pk_bf16_f32 v70, v76, v77                            // 000000012C58: D2680046 00029B4C
	v_cvt_pk_bf16_f32 v71, v78, v79                            // 000000012C60: D2680047 00029F4E
	v_permlane32_swap_b32_e32 v64, v66                         // 000000012C68: 7E80B542
	v_permlane32_swap_b32_e32 v65, v67                         // 000000012C6C: 7E82B543
	v_permlane32_swap_b32_e32 v68, v70                         // 000000012C70: 7E88B546
	v_permlane32_swap_b32_e32 v69, v71                         // 000000012C74: 7E8AB547
	s_nop 1                                                    // 000000012C78: BF800001
	v_permlane16_swap_b32_e32 v64, v68                         // 000000012C7C: 7E80B344
	v_permlane16_swap_b32_e32 v65, v69                         // 000000012C80: 7E82B345
	v_permlane16_swap_b32_e32 v66, v70                         // 000000012C84: 7E84B346
	v_permlane16_swap_b32_e32 v67, v71                         // 000000012C88: 7E86B347
	ds_bpermute_b32 v32, v28, v64                              // 000000012C8C: D87E0000 2000401C
	ds_bpermute_b32 v33, v28, v65                              // 000000012C94: D87E0000 2100411C
	ds_bpermute_b32 v34, v28, v66                              // 000000012C9C: D87E0000 2200421C
	ds_bpermute_b32 v35, v28, v67                              // 000000012CA4: D87E0000 2300431C
	ds_bpermute_b32 v36, v28, v68                              // 000000012CAC: D87E0000 2400441C
	ds_bpermute_b32 v37, v28, v69                              // 000000012CB4: D87E0000 2500451C
	ds_bpermute_b32 v38, v28, v70                              // 000000012CBC: D87E0000 2600461C
	ds_bpermute_b32 v39, v28, v71                              // 000000012CC4: D87E0000 2700471C
	s_waitcnt lgkmcnt(4)                                       // 000000012CCC: BF8CC47F
	buffer_store_dwordx4 v[32:35], v7, s[88:91], 0 offen       // 000000012CD0: E07C1000 80162007
	s_mov_b32 s56, 64                                          // 000000012CD8: BEB800C0
	v_add_u32_e32 v7, s56, v7                                  // 000000012CDC: 680E0E38
	s_waitcnt lgkmcnt(0)                                       // 000000012CE0: BF8CC07F
	buffer_store_dwordx4 v[36:39], v8, s[88:91], 0 offen       // 000000012CE4: E07C1000 80162408
	v_add_u32_e32 v8, s56, v8                                  // 000000012CEC: 68101038
	buffer_store_dword v5, v9, s[92:95], 0 offen               // 000000012CF0: E0701000 80170509

0000000000012cf8 <label_10B00>:
	s_mov_b32 s56, 32                                          // 000000012CF8: BEB800A0
	s_addk_i32 s85, 0x1                                        // 000000012CFC: B7550001
	s_cmp_lt_i32 s85, s86                                      // 000000012D00: BF045655
	s_cbranch_scc1 label_00A4                                  // 000000012D04: BF85BDE7

0000000000012d08 <label_10B10>:
	s_waitcnt vmcnt(0) expcnt(0) lgkmcnt(0)                    // 000000012D08: BF8C0000
	s_endpgm                                                   // 000000012D0C: BF810000
